;; amdgpu-corpus repo=ROCm/rocFFT kind=compiled arch=gfx1201 opt=O3
	.text
	.amdgcn_target "amdgcn-amd-amdhsa--gfx1201"
	.amdhsa_code_object_version 6
	.protected	bluestein_single_back_len1836_dim1_dp_op_CI_CI ; -- Begin function bluestein_single_back_len1836_dim1_dp_op_CI_CI
	.globl	bluestein_single_back_len1836_dim1_dp_op_CI_CI
	.p2align	8
	.type	bluestein_single_back_len1836_dim1_dp_op_CI_CI,@function
bluestein_single_back_len1836_dim1_dp_op_CI_CI: ; @bluestein_single_back_len1836_dim1_dp_op_CI_CI
; %bb.0:
	s_load_b128 s[8:11], s[0:1], 0x28
	v_mul_u32_u24_e32 v1, 0x1ad, v0
	s_mov_b32 s2, exec_lo
	v_mov_b32_e32 v4, 0
	s_delay_alu instid0(VALU_DEP_2) | instskip(NEXT) | instid1(VALU_DEP_1)
	v_lshrrev_b32_e32 v1, 16, v1
	v_add_nc_u32_e32 v3, ttmp9, v1
	s_delay_alu instid0(VALU_DEP_1)
	v_mov_b32_e32 v2, v3
	scratch_store_b64 off, v[2:3], off      ; 8-byte Folded Spill
	s_wait_kmcnt 0x0
	v_cmpx_gt_u64_e64 s[8:9], v[3:4]
	s_cbranch_execz .LBB0_15
; %bb.1:
	s_clause 0x1
	s_load_b64 s[8:9], s[0:1], 0x0
	s_load_b64 s[12:13], s[0:1], 0x38
	v_mul_lo_u16 v1, 0x99, v1
	s_delay_alu instid0(VALU_DEP_1) | instskip(NEXT) | instid1(VALU_DEP_1)
	v_sub_nc_u16 v0, v0, v1
	v_and_b32_e32 v210, 0xffff, v0
	v_cmp_gt_u16_e32 vcc_lo, 0x6c, v0
	s_delay_alu instid0(VALU_DEP_2)
	v_lshlrev_b32_e32 v255, 4, v210
	s_and_saveexec_b32 s3, vcc_lo
	s_cbranch_execz .LBB0_3
; %bb.2:
	scratch_load_b64 v[0:1], off, off       ; 8-byte Folded Reload
	s_load_b64 s[4:5], s[0:1], 0x18
	s_wait_kmcnt 0x0
	s_load_b128 s[4:7], s[4:5], 0x0
	s_wait_kmcnt 0x0
	v_mad_co_u64_u32 v[32:33], null, s4, v210, 0
	s_wait_loadcnt 0x0
	s_delay_alu instid0(VALU_DEP_1) | instskip(NEXT) | instid1(VALU_DEP_1)
	v_dual_mov_b32 v1, v33 :: v_dual_mov_b32 v2, v0
	v_mad_co_u64_u32 v[16:17], null, s6, v2, 0
	s_delay_alu instid0(VALU_DEP_1) | instskip(NEXT) | instid1(VALU_DEP_1)
	v_mov_b32_e32 v0, v17
	v_mad_co_u64_u32 v[2:3], null, s7, v2, v[0:1]
	s_delay_alu instid0(VALU_DEP_1)
	v_mov_b32_e32 v17, v2
	v_mad_co_u64_u32 v[18:19], null, s5, v210, v[1:2]
	s_mul_u64 s[4:5], s[4:5], 0x6c0
	s_clause 0x3
	global_load_b128 v[0:3], v255, s[8:9]
	global_load_b128 v[4:7], v255, s[8:9] offset:1728
	global_load_b128 v[8:11], v255, s[8:9] offset:3456
	;; [unrolled: 1-line block ×3, first 2 shown]
	v_lshlrev_b64_e32 v[34:35], 4, v[16:17]
	v_mov_b32_e32 v33, v18
	s_clause 0x3
	global_load_b128 v[16:19], v255, s[8:9] offset:6912
	global_load_b128 v[20:23], v255, s[8:9] offset:8640
	;; [unrolled: 1-line block ×4, first 2 shown]
	v_add_co_u32 v42, s2, s10, v34
	s_delay_alu instid0(VALU_DEP_1)
	v_add_co_ci_u32_e64 v43, s2, s11, v35, s2
	v_lshlrev_b64_e32 v[40:41], 4, v[32:33]
	s_clause 0x1
	global_load_b128 v[32:35], v255, s[8:9] offset:13824
	global_load_b128 v[36:39], v255, s[8:9] offset:15552
	v_add_co_u32 v56, s2, v42, v40
	s_wait_alu 0xf1ff
	v_add_co_ci_u32_e64 v57, s2, v43, v41, s2
	s_clause 0x1
	global_load_b128 v[40:43], v255, s[8:9] offset:17280
	global_load_b128 v[44:47], v255, s[8:9] offset:19008
	s_wait_alu 0xfffe
	v_add_co_u32 v60, s2, v56, s4
	s_wait_alu 0xf1ff
	v_add_co_ci_u32_e64 v61, s2, s5, v57, s2
	s_clause 0x1
	global_load_b128 v[48:51], v255, s[8:9] offset:20736
	global_load_b128 v[52:55], v255, s[8:9] offset:22464
	v_add_co_u32 v64, s2, v60, s4
	s_wait_alu 0xf1ff
	v_add_co_ci_u32_e64 v65, s2, s5, v61, s2
	s_clause 0x1
	global_load_b128 v[56:59], v[56:57], off
	global_load_b128 v[60:63], v[60:61], off
	v_add_co_u32 v68, s2, v64, s4
	s_wait_alu 0xf1ff
	v_add_co_ci_u32_e64 v69, s2, s5, v65, s2
	s_delay_alu instid0(VALU_DEP_2) | instskip(SKIP_1) | instid1(VALU_DEP_2)
	v_add_co_u32 v72, s2, v68, s4
	s_wait_alu 0xf1ff
	v_add_co_ci_u32_e64 v73, s2, s5, v69, s2
	s_clause 0x1
	global_load_b128 v[64:67], v[64:65], off
	global_load_b128 v[68:71], v[68:69], off
	v_add_co_u32 v76, s2, v72, s4
	s_wait_alu 0xf1ff
	v_add_co_ci_u32_e64 v77, s2, s5, v73, s2
	global_load_b128 v[72:75], v[72:73], off
	v_add_co_u32 v80, s2, v76, s4
	s_wait_alu 0xf1ff
	v_add_co_ci_u32_e64 v81, s2, s5, v77, s2
	;; [unrolled: 4-line block ×12, first 2 shown]
	s_clause 0x1
	global_load_b128 v[116:119], v255, s[8:9] offset:24192
	global_load_b128 v[120:123], v255, s[8:9] offset:25920
	global_load_b128 v[124:127], v[124:125], off
	global_load_b128 v[128:131], v255, s[8:9] offset:27648
	global_load_b128 v[132:135], v[132:133], off
	s_wait_loadcnt 0x13
	v_mul_f64_e32 v[136:137], v[58:59], v[2:3]
	v_mul_f64_e32 v[2:3], v[56:57], v[2:3]
	s_wait_loadcnt 0x12
	v_mul_f64_e32 v[138:139], v[62:63], v[6:7]
	v_mul_f64_e32 v[6:7], v[60:61], v[6:7]
	s_wait_loadcnt 0x11
	v_mul_f64_e32 v[140:141], v[66:67], v[10:11]
	v_mul_f64_e32 v[10:11], v[64:65], v[10:11]
	s_wait_loadcnt 0x10
	v_mul_f64_e32 v[142:143], v[70:71], v[14:15]
	v_mul_f64_e32 v[14:15], v[68:69], v[14:15]
	s_wait_loadcnt 0xf
	v_mul_f64_e32 v[144:145], v[74:75], v[18:19]
	v_mul_f64_e32 v[18:19], v[72:73], v[18:19]
	s_wait_loadcnt 0xe
	v_mul_f64_e32 v[146:147], v[78:79], v[22:23]
	v_mul_f64_e32 v[22:23], v[76:77], v[22:23]
	s_wait_loadcnt 0xd
	v_mul_f64_e32 v[148:149], v[82:83], v[26:27]
	v_mul_f64_e32 v[26:27], v[80:81], v[26:27]
	s_wait_loadcnt 0xc
	v_mul_f64_e32 v[150:151], v[86:87], v[30:31]
	v_mul_f64_e32 v[30:31], v[84:85], v[30:31]
	s_wait_loadcnt 0xb
	v_mul_f64_e32 v[152:153], v[90:91], v[34:35]
	v_mul_f64_e32 v[34:35], v[88:89], v[34:35]
	s_wait_loadcnt 0xa
	v_mul_f64_e32 v[154:155], v[94:95], v[38:39]
	v_mul_f64_e32 v[38:39], v[92:93], v[38:39]
	s_wait_loadcnt 0x9
	v_mul_f64_e32 v[156:157], v[98:99], v[42:43]
	v_mul_f64_e32 v[42:43], v[96:97], v[42:43]
	s_wait_loadcnt 0x8
	v_mul_f64_e32 v[158:159], v[102:103], v[46:47]
	v_mul_f64_e32 v[46:47], v[100:101], v[46:47]
	s_wait_loadcnt 0x7
	v_mul_f64_e32 v[160:161], v[106:107], v[50:51]
	v_mul_f64_e32 v[50:51], v[104:105], v[50:51]
	s_wait_loadcnt 0x6
	v_mul_f64_e32 v[162:163], v[110:111], v[54:55]
	v_mul_f64_e32 v[164:165], v[108:109], v[54:55]
	v_fma_f64 v[54:55], v[56:57], v[0:1], v[136:137]
	v_fma_f64 v[56:57], v[58:59], v[0:1], -v[2:3]
	v_fma_f64 v[0:1], v[60:61], v[4:5], v[138:139]
	v_fma_f64 v[2:3], v[62:63], v[4:5], -v[6:7]
	s_wait_loadcnt 0x4
	v_mul_f64_e32 v[166:167], v[114:115], v[118:119]
	v_mul_f64_e32 v[118:119], v[112:113], v[118:119]
	s_wait_loadcnt 0x2
	v_mul_f64_e32 v[168:169], v[126:127], v[122:123]
	v_mul_f64_e32 v[122:123], v[124:125], v[122:123]
	s_wait_loadcnt 0x0
	v_mul_f64_e32 v[170:171], v[134:135], v[130:131]
	v_mul_f64_e32 v[130:131], v[132:133], v[130:131]
	v_fma_f64 v[4:5], v[64:65], v[8:9], v[140:141]
	v_fma_f64 v[6:7], v[66:67], v[8:9], -v[10:11]
	v_fma_f64 v[8:9], v[68:69], v[12:13], v[142:143]
	v_fma_f64 v[10:11], v[70:71], v[12:13], -v[14:15]
	;; [unrolled: 2-line block ×15, first 2 shown]
	ds_store_b128 v255, v[54:57]
	ds_store_b128 v255, v[0:3] offset:1728
	ds_store_b128 v255, v[4:7] offset:3456
	;; [unrolled: 1-line block ×16, first 2 shown]
.LBB0_3:
	s_or_b32 exec_lo, exec_lo, s3
	s_clause 0x1
	s_load_b64 s[2:3], s[0:1], 0x20
	s_load_b64 s[4:5], s[0:1], 0x8
	global_wb scope:SCOPE_SE
	s_wait_storecnt_dscnt 0x0
	s_wait_kmcnt 0x0
	s_barrier_signal -1
	s_barrier_wait -1
	global_inv scope:SCOPE_SE
                                        ; implicit-def: $vgpr20_vgpr21
                                        ; implicit-def: $vgpr36_vgpr37
                                        ; implicit-def: $vgpr40_vgpr41
                                        ; implicit-def: $vgpr44_vgpr45
                                        ; implicit-def: $vgpr48_vgpr49
                                        ; implicit-def: $vgpr52_vgpr53
                                        ; implicit-def: $vgpr56_vgpr57
                                        ; implicit-def: $vgpr60_vgpr61
                                        ; implicit-def: $vgpr68_vgpr69
                                        ; implicit-def: $vgpr72_vgpr73
                                        ; implicit-def: $vgpr76_vgpr77
                                        ; implicit-def: $vgpr80_vgpr81
                                        ; implicit-def: $vgpr84_vgpr85
                                        ; implicit-def: $vgpr64_vgpr65
                                        ; implicit-def: $vgpr32_vgpr33
                                        ; implicit-def: $vgpr28_vgpr29
                                        ; implicit-def: $vgpr24_vgpr25
	s_and_saveexec_b32 s0, vcc_lo
	s_cbranch_execz .LBB0_5
; %bb.4:
	ds_load_b128 v[20:23], v255
	ds_load_b128 v[36:39], v255 offset:1728
	ds_load_b128 v[40:43], v255 offset:3456
	;; [unrolled: 1-line block ×16, first 2 shown]
.LBB0_5:
	s_wait_alu 0xfffe
	s_or_b32 exec_lo, exec_lo, s0
	s_wait_dscnt 0x0
	v_add_f64_e64 v[162:163], v[38:39], -v[26:27]
	s_mov_b32 s0, 0x5d8e7cdc
	s_mov_b32 s1, 0xbfd71e95
	v_add_f64_e32 v[156:157], v[36:37], v[24:25]
	v_add_f64_e64 v[102:103], v[42:43], -v[30:31]
	s_mov_b32 s6, 0x370991
	s_mov_b32 s14, 0x2a9d6da3
	;; [unrolled: 1-line block ×4, first 2 shown]
	v_add_f64_e32 v[88:89], v[40:41], v[28:29]
	v_add_f64_e64 v[182:183], v[36:37], -v[24:25]
	s_mov_b32 s10, 0x75d4884
	s_mov_b32 s11, 0x3fe7a5f6
	v_add_f64_e32 v[178:179], v[38:39], v[26:27]
	v_add_f64_e64 v[100:101], v[40:41], -v[28:29]
	v_add_f64_e32 v[96:97], v[42:43], v[30:31]
	v_add_f64_e64 v[114:115], v[46:47], -v[34:35]
	s_mov_b32 s18, 0x7c9e640b
	s_mov_b32 s19, 0xbfeca52d
	v_add_f64_e32 v[92:93], v[44:45], v[32:33]
	v_add_f64_e64 v[112:113], v[44:45], -v[32:33]
	s_mov_b32 s16, 0x2b2883cd
	s_mov_b32 s17, 0x3fdc86fa
	;; [unrolled: 4-line block ×5, first 2 shown]
	v_add_f64_e32 v[116:117], v[52:53], v[84:85]
	v_add_f64_e64 v[142:143], v[52:53], -v[84:85]
	s_mov_b32 s24, 0xc61f0d01
	s_wait_alu 0xfffe
	v_mul_f64_e32 v[225:226], s[0:1], v[162:163]
	s_mov_b32 s25, 0xbfd183b1
	v_add_f64_e32 v[132:133], v[54:55], v[86:87]
	v_add_f64_e64 v[168:169], v[58:59], -v[82:83]
	v_mul_f64_e32 v[8:9], s[14:15], v[102:103]
	s_mov_b32 s54, 0x6c9a05f6
	s_mov_b32 s55, 0xbfe9895b
	v_add_f64_e32 v[128:129], v[56:57], v[80:81]
	v_add_f64_e64 v[160:161], v[56:57], -v[80:81]
	s_mov_b32 s28, 0x6ed5f1bb
	v_mul_f64_e32 v[229:230], s[0:1], v[182:183]
	s_mov_b32 s29, 0xbfe348c8
	v_add_f64_e32 v[144:145], v[58:59], v[82:83]
	v_add_f64_e64 v[172:173], v[62:63], -v[78:79]
	v_mul_f64_e32 v[12:13], s[14:15], v[100:101]
	s_mov_b32 s36, 0x4363dd80
	v_mul_f64_e32 v[10:11], s[18:19], v[114:115]
	s_mov_b32 s37, 0x3fe0d888
	s_mov_b32 s41, 0xbfe0d888
	;; [unrolled: 1-line block ×3, first 2 shown]
	v_mul_f64_e32 v[16:17], s[18:19], v[112:113]
	v_add_f64_e32 v[138:139], v[60:61], v[76:77]
	v_add_f64_e64 v[170:171], v[60:61], -v[76:77]
	s_mov_b32 s30, 0x910ea3b9
	v_mul_f64_e32 v[14:15], s[22:23], v[124:125]
	s_mov_b32 s31, 0xbfeb34fa
	v_add_f64_e32 v[152:153], v[62:63], v[78:79]
	v_add_f64_e64 v[176:177], v[70:71], -v[74:75]
	v_mul_f64_e32 v[211:212], s[22:23], v[126:127]
	s_mov_b32 s38, 0xacd6c6b4
	s_mov_b32 s39, 0xbfc7851a
	v_add_f64_e32 v[148:149], v[68:69], v[72:73]
	v_mul_f64_e32 v[18:19], s[26:27], v[136:137]
	v_add_f64_e64 v[174:175], v[68:69], -v[72:73]
	s_mov_b32 s34, 0x7faef3
	s_mov_b32 s35, 0xbfef7484
	v_mul_f64_e32 v[215:216], s[26:27], v[142:143]
	v_add_f64_e32 v[164:165], v[70:71], v[74:75]
	v_fma_f64 v[0:1], v[156:157], s[6:7], v[225:226]
	v_mul_f64_e32 v[194:195], s[14:15], v[162:163]
	v_mul_f64_e32 v[196:197], s[14:15], v[182:183]
	;; [unrolled: 1-line block ×3, first 2 shown]
	v_fma_f64 v[2:3], v[88:89], s[10:11], v[8:9]
	s_mov_b32 s51, 0x3feec746
	s_mov_b32 s50, s26
	;; [unrolled: 1-line block ×3, first 2 shown]
	v_mul_f64_e32 v[219:220], s[54:55], v[160:161]
	v_mul_f64_e32 v[237:238], s[50:51], v[160:161]
	s_mov_b32 s44, s18
	s_mov_b32 s43, 0x3fd71e95
	;; [unrolled: 1-line block ×3, first 2 shown]
	v_mul_f64_e32 v[217:218], s[40:41], v[172:173]
	v_fma_f64 v[4:5], v[96:97], s[10:11], -v[12:13]
	v_mul_f64_e32 v[198:199], s[18:19], v[162:163]
	v_mul_f64_e32 v[200:201], s[18:19], v[182:183]
	s_mov_b32 s47, 0x3fc7851a
	s_mov_b32 s46, s38
	v_mul_f64_e32 v[239:240], s[50:51], v[126:127]
	s_mov_b32 s49, 0x3fe58eea
	s_mov_b32 s48, s14
	v_mul_f64_e32 v[223:224], s[40:41], v[170:171]
	v_mul_f64_e32 v[235:236], s[48:49], v[136:137]
	;; [unrolled: 1-line block ×16, first 2 shown]
	v_add_f64_e32 v[0:1], v[20:21], v[0:1]
	v_mul_f64_e32 v[158:159], s[18:19], v[142:143]
	v_mul_f64_e32 v[146:147], s[40:41], v[168:169]
	;; [unrolled: 1-line block ×3, first 2 shown]
	s_mov_b32 s53, 0x3fe9895b
	s_mov_b32 s52, s54
	v_mul_f64_e32 v[249:250], s[48:49], v[176:177]
	v_mul_f64_e32 v[94:95], s[52:53], v[172:173]
	v_mul_f64_e32 v[122:123], s[52:53], v[170:171]
	v_mul_f64_e32 v[110:111], s[48:49], v[174:175]
	v_mul_f64_e32 v[206:207], s[26:27], v[162:163]
	v_mul_f64_e32 v[208:209], s[26:27], v[182:183]
	v_mul_f64_e32 v[90:91], s[36:37], v[100:101]
	v_mul_f64_e32 v[245:246], s[48:49], v[114:115]
	v_mul_f64_e32 v[134:135], s[48:49], v[112:113]
	v_mul_f64_e32 v[247:248], s[18:19], v[124:125]
	v_mul_f64_e32 v[180:181], s[18:19], v[126:127]
	v_mul_f64_e32 v[150:151], s[38:39], v[136:137]
	v_mul_f64_e32 v[190:191], s[38:39], v[142:143]
	s_mov_b32 s57, 0x3fefdd0d
	s_mov_b32 s56, s22
	v_mul_f64_e32 v[140:141], s[0:1], v[172:173]
	v_mul_f64_e32 v[186:187], s[56:57], v[168:169]
	;; [unrolled: 1-line block ×6, first 2 shown]
	v_add_f64_e32 v[0:1], v[2:3], v[0:1]
	v_fma_f64 v[2:3], v[178:179], s[6:7], -v[229:230]
	s_delay_alu instid0(VALU_DEP_1) | instskip(NEXT) | instid1(VALU_DEP_1)
	v_add_f64_e32 v[2:3], v[22:23], v[2:3]
	v_add_f64_e32 v[2:3], v[4:5], v[2:3]
	v_fma_f64 v[4:5], v[92:93], s[16:17], v[10:11]
	s_delay_alu instid0(VALU_DEP_1) | instskip(SKIP_1) | instid1(VALU_DEP_1)
	v_add_f64_e32 v[0:1], v[4:5], v[0:1]
	v_fma_f64 v[4:5], v[108:109], s[16:17], -v[16:17]
	v_add_f64_e32 v[2:3], v[4:5], v[2:3]
	v_fma_f64 v[4:5], v[104:105], s[20:21], v[14:15]
	s_delay_alu instid0(VALU_DEP_1) | instskip(SKIP_1) | instid1(VALU_DEP_1)
	v_add_f64_e32 v[0:1], v[4:5], v[0:1]
	v_fma_f64 v[4:5], v[120:121], s[20:21], -v[211:212]
	;; [unrolled: 5-line block ×6, first 2 shown]
	v_add_f64_e32 v[6:7], v[0:1], v[2:3]
	v_fma_f64 v[0:1], v[156:157], s[10:11], v[194:195]
	v_mul_f64_e32 v[2:3], s[22:23], v[102:103]
	scratch_store_b128 off, v[4:7], off offset:8 ; 16-byte Folded Spill
	v_add_f64_e32 v[0:1], v[20:21], v[0:1]
	scratch_store_b64 off, v[2:3], off offset:88 ; 8-byte Folded Spill
	v_fma_f64 v[2:3], v[88:89], s[20:21], v[2:3]
	v_mul_f64_e32 v[4:5], s[22:23], v[100:101]
	s_delay_alu instid0(VALU_DEP_2) | instskip(SKIP_4) | instid1(VALU_DEP_1)
	v_add_f64_e32 v[0:1], v[2:3], v[0:1]
	v_fma_f64 v[2:3], v[178:179], s[10:11], -v[196:197]
	scratch_store_b64 off, v[4:5], off offset:136 ; 8-byte Folded Spill
	v_fma_f64 v[4:5], v[96:97], s[20:21], -v[4:5]
	v_add_f64_e32 v[2:3], v[22:23], v[2:3]
	v_add_f64_e32 v[2:3], v[4:5], v[2:3]
	v_mul_f64_e32 v[4:5], s[54:55], v[114:115]
	scratch_store_b64 off, v[4:5], off offset:104 ; 8-byte Folded Spill
	v_fma_f64 v[4:5], v[92:93], s[28:29], v[4:5]
	s_delay_alu instid0(VALU_DEP_1) | instskip(SKIP_3) | instid1(VALU_DEP_1)
	v_add_f64_e32 v[0:1], v[4:5], v[0:1]
	v_mul_f64_e32 v[4:5], s[54:55], v[112:113]
	scratch_store_b64 off, v[4:5], off offset:168 ; 8-byte Folded Spill
	v_fma_f64 v[4:5], v[108:109], s[28:29], -v[4:5]
	v_add_f64_e32 v[2:3], v[4:5], v[2:3]
	v_mul_f64_e32 v[4:5], s[38:39], v[124:125]
	scratch_store_b64 off, v[4:5], off offset:120 ; 8-byte Folded Spill
	v_fma_f64 v[4:5], v[104:105], s[34:35], v[4:5]
	s_delay_alu instid0(VALU_DEP_1) | instskip(SKIP_3) | instid1(VALU_DEP_1)
	v_add_f64_e32 v[0:1], v[4:5], v[0:1]
	v_mul_f64_e32 v[4:5], s[38:39], v[126:127]
	scratch_store_b64 off, v[4:5], off offset:224 ; 8-byte Folded Spill
	v_fma_f64 v[4:5], v[120:121], s[34:35], -v[4:5]
	;; [unrolled: 9-line block ×3, first 2 shown]
	v_add_f64_e32 v[2:3], v[4:5], v[2:3]
	v_mul_f64_e32 v[4:5], s[50:51], v[168:169]
	scratch_store_b64 off, v[4:5], off offset:264 ; 8-byte Folded Spill
	v_fma_f64 v[4:5], v[128:129], s[24:25], v[4:5]
	s_delay_alu instid0(VALU_DEP_1) | instskip(SKIP_1) | instid1(VALU_DEP_1)
	v_add_f64_e32 v[0:1], v[4:5], v[0:1]
	v_fma_f64 v[4:5], v[144:145], s[24:25], -v[237:238]
	v_add_f64_e32 v[2:3], v[4:5], v[2:3]
	v_mul_f64_e32 v[4:5], s[44:45], v[172:173]
	scratch_store_b64 off, v[4:5], off offset:200 ; 8-byte Folded Spill
	v_fma_f64 v[4:5], v[138:139], s[16:17], v[4:5]
	s_delay_alu instid0(VALU_DEP_1) | instskip(SKIP_3) | instid1(VALU_DEP_1)
	v_add_f64_e32 v[0:1], v[4:5], v[0:1]
	v_mul_f64_e32 v[4:5], s[44:45], v[170:171]
	scratch_store_b64 off, v[4:5], off offset:240 ; 8-byte Folded Spill
	v_fma_f64 v[4:5], v[152:153], s[16:17], -v[4:5]
	v_add_f64_e32 v[2:3], v[4:5], v[2:3]
	v_mul_f64_e32 v[4:5], s[42:43], v[176:177]
	scratch_store_b64 off, v[4:5], off offset:208 ; 8-byte Folded Spill
	v_fma_f64 v[4:5], v[148:149], s[6:7], v[4:5]
	s_delay_alu instid0(VALU_DEP_1) | instskip(SKIP_3) | instid1(VALU_DEP_1)
	v_add_f64_e32 v[4:5], v[4:5], v[0:1]
	v_mul_f64_e32 v[0:1], s[42:43], v[174:175]
	scratch_store_b64 off, v[0:1], off offset:280 ; 8-byte Folded Spill
	v_fma_f64 v[0:1], v[164:165], s[6:7], -v[0:1]
	v_add_f64_e32 v[6:7], v[0:1], v[2:3]
	v_fma_f64 v[0:1], v[156:157], s[16:17], v[198:199]
	v_mul_f64_e32 v[2:3], s[54:55], v[102:103]
	scratch_store_b128 off, v[4:7], off offset:24 ; 16-byte Folded Spill
	v_add_f64_e32 v[0:1], v[20:21], v[0:1]
	scratch_store_b64 off, v[2:3], off offset:152 ; 8-byte Folded Spill
	v_fma_f64 v[2:3], v[88:89], s[28:29], v[2:3]
	v_mul_f64_e32 v[4:5], s[54:55], v[100:101]
	s_delay_alu instid0(VALU_DEP_2) | instskip(SKIP_4) | instid1(VALU_DEP_1)
	v_add_f64_e32 v[0:1], v[2:3], v[0:1]
	v_fma_f64 v[2:3], v[178:179], s[16:17], -v[200:201]
	scratch_store_b64 off, v[4:5], off offset:248 ; 8-byte Folded Spill
	v_fma_f64 v[4:5], v[96:97], s[28:29], -v[4:5]
	v_add_f64_e32 v[2:3], v[22:23], v[2:3]
	v_add_f64_e32 v[2:3], v[4:5], v[2:3]
	v_mul_f64_e32 v[4:5], s[46:47], v[114:115]
	scratch_store_b64 off, v[4:5], off offset:216 ; 8-byte Folded Spill
	v_fma_f64 v[4:5], v[92:93], s[34:35], v[4:5]
	s_delay_alu instid0(VALU_DEP_1) | instskip(SKIP_3) | instid1(VALU_DEP_1)
	v_add_f64_e32 v[0:1], v[4:5], v[0:1]
	v_mul_f64_e32 v[4:5], s[46:47], v[112:113]
	scratch_store_b64 off, v[4:5], off offset:296 ; 8-byte Folded Spill
	v_fma_f64 v[4:5], v[108:109], s[34:35], -v[4:5]
	v_add_f64_e32 v[2:3], v[4:5], v[2:3]
	v_mul_f64_e32 v[4:5], s[50:51], v[124:125]
	scratch_store_b64 off, v[4:5], off offset:232 ; 8-byte Folded Spill
	v_fma_f64 v[4:5], v[104:105], s[24:25], v[4:5]
	s_delay_alu instid0(VALU_DEP_1) | instskip(SKIP_1) | instid1(VALU_DEP_1)
	v_add_f64_e32 v[0:1], v[4:5], v[0:1]
	v_fma_f64 v[4:5], v[120:121], s[24:25], -v[239:240]
	v_add_f64_e32 v[2:3], v[4:5], v[2:3]
	v_fma_f64 v[4:5], v[116:117], s[10:11], v[235:236]
	s_delay_alu instid0(VALU_DEP_1) | instskip(SKIP_1) | instid1(VALU_DEP_1)
	v_add_f64_e32 v[0:1], v[4:5], v[0:1]
	v_fma_f64 v[4:5], v[132:133], s[10:11], -v[106:107]
	v_add_f64_e32 v[2:3], v[4:5], v[2:3]
	;; [unrolled: 5-line block ×3, first 2 shown]
	v_mul_f64_e32 v[4:5], s[22:23], v[172:173]
	scratch_store_b64 off, v[4:5], off offset:312 ; 8-byte Folded Spill
	v_fma_f64 v[4:5], v[138:139], s[20:21], v[4:5]
	s_delay_alu instid0(VALU_DEP_1) | instskip(SKIP_1) | instid1(VALU_DEP_1)
	v_add_f64_e32 v[0:1], v[4:5], v[0:1]
	v_fma_f64 v[4:5], v[152:153], s[20:21], -v[241:242]
	v_add_f64_e32 v[2:3], v[4:5], v[2:3]
	v_mul_f64_e32 v[4:5], s[40:41], v[176:177]
	scratch_store_b64 off, v[4:5], off offset:288 ; 8-byte Folded Spill
	v_fma_f64 v[4:5], v[148:149], s[30:31], v[4:5]
	s_delay_alu instid0(VALU_DEP_1) | instskip(SKIP_1) | instid1(VALU_DEP_1)
	v_add_f64_e32 v[4:5], v[4:5], v[0:1]
	v_fma_f64 v[0:1], v[164:165], s[30:31], -v[243:244]
	v_add_f64_e32 v[6:7], v[0:1], v[2:3]
	v_fma_f64 v[0:1], v[156:157], s[20:21], v[202:203]
	v_mul_f64_e32 v[2:3], s[38:39], v[102:103]
	scratch_store_b128 off, v[4:7], off offset:40 ; 16-byte Folded Spill
	v_add_f64_e32 v[0:1], v[20:21], v[0:1]
	scratch_store_b64 off, v[2:3], off offset:256 ; 8-byte Folded Spill
	v_fma_f64 v[2:3], v[88:89], s[34:35], v[2:3]
	v_fma_f64 v[4:5], v[96:97], s[34:35], -v[233:234]
	s_delay_alu instid0(VALU_DEP_2) | instskip(SKIP_1) | instid1(VALU_DEP_1)
	v_add_f64_e32 v[0:1], v[2:3], v[0:1]
	v_fma_f64 v[2:3], v[178:179], s[20:21], -v[204:205]
	v_add_f64_e32 v[2:3], v[22:23], v[2:3]
	s_delay_alu instid0(VALU_DEP_1) | instskip(SKIP_3) | instid1(VALU_DEP_1)
	v_add_f64_e32 v[2:3], v[4:5], v[2:3]
	v_mul_f64_e32 v[4:5], s[50:51], v[114:115]
	scratch_store_b64 off, v[4:5], off offset:304 ; 8-byte Folded Spill
	v_fma_f64 v[4:5], v[92:93], s[24:25], v[4:5]
	v_add_f64_e32 v[0:1], v[4:5], v[0:1]
	v_fma_f64 v[4:5], v[108:109], s[24:25], -v[251:252]
	s_delay_alu instid0(VALU_DEP_1) | instskip(SKIP_1) | instid1(VALU_DEP_1)
	v_add_f64_e32 v[2:3], v[4:5], v[2:3]
	v_fma_f64 v[4:5], v[104:105], s[6:7], v[231:232]
	v_add_f64_e32 v[0:1], v[4:5], v[0:1]
	v_fma_f64 v[4:5], v[120:121], s[6:7], -v[118:119]
	s_delay_alu instid0(VALU_DEP_1) | instskip(SKIP_1) | instid1(VALU_DEP_1)
	v_add_f64_e32 v[2:3], v[4:5], v[2:3]
	;; [unrolled: 5-line block ×5, first 2 shown]
	v_fma_f64 v[4:5], v[148:149], s[10:11], v[249:250]
	v_add_f64_e32 v[4:5], v[4:5], v[0:1]
	v_fma_f64 v[0:1], v[164:165], s[10:11], -v[110:111]
	s_delay_alu instid0(VALU_DEP_1)
	v_add_f64_e32 v[6:7], v[0:1], v[2:3]
	v_fma_f64 v[0:1], v[156:157], s[24:25], v[206:207]
	v_mul_f64_e32 v[2:3], s[36:37], v[102:103]
	scratch_store_b128 off, v[4:7], off offset:56 ; 16-byte Folded Spill
	v_add_f64_e32 v[0:1], v[20:21], v[0:1]
	scratch_store_b64 off, v[2:3], off offset:320 ; 8-byte Folded Spill
	v_fma_f64 v[2:3], v[88:89], s[30:31], v[2:3]
	v_fma_f64 v[4:5], v[96:97], s[30:31], -v[90:91]
	s_delay_alu instid0(VALU_DEP_2) | instskip(SKIP_1) | instid1(VALU_DEP_1)
	v_add_f64_e32 v[0:1], v[2:3], v[0:1]
	v_fma_f64 v[2:3], v[178:179], s[24:25], -v[208:209]
	v_add_f64_e32 v[2:3], v[22:23], v[2:3]
	s_delay_alu instid0(VALU_DEP_1) | instskip(SKIP_1) | instid1(VALU_DEP_1)
	v_add_f64_e32 v[2:3], v[4:5], v[2:3]
	v_fma_f64 v[4:5], v[92:93], s[10:11], v[245:246]
	v_add_f64_e32 v[0:1], v[4:5], v[0:1]
	v_fma_f64 v[4:5], v[108:109], s[10:11], -v[134:135]
	s_delay_alu instid0(VALU_DEP_1) | instskip(SKIP_1) | instid1(VALU_DEP_1)
	v_add_f64_e32 v[2:3], v[4:5], v[2:3]
	v_fma_f64 v[4:5], v[104:105], s[16:17], v[247:248]
	v_add_f64_e32 v[0:1], v[4:5], v[0:1]
	v_fma_f64 v[4:5], v[120:121], s[16:17], -v[180:181]
	;; [unrolled: 5-line block ×6, first 2 shown]
	s_delay_alu instid0(VALU_DEP_1)
	v_add_f64_e32 v[6:7], v[0:1], v[2:3]
	scratch_store_b128 off, v[4:7], off offset:72 ; 16-byte Folded Spill
	global_wb scope:SCOPE_SE
	s_wait_storecnt 0x0
	s_barrier_signal -1
	s_barrier_wait -1
	global_inv scope:SCOPE_SE
	s_and_saveexec_b32 s33, vcc_lo
	s_cbranch_execz .LBB0_7
; %bb.6:
	v_add_f64_e32 v[0:1], v[22:23], v[38:39]
	v_add_f64_e32 v[2:3], v[20:21], v[36:37]
	v_mul_f64_e32 v[4:5], s[30:31], v[178:179]
	v_dual_mov_b32 v38, v229 :: v_dual_mov_b32 v39, v230
	v_dual_mov_b32 v230, v228 :: v_dual_mov_b32 v229, v227
	;; [unrolled: 1-line block ×4, first 2 shown]
	v_mul_f64_e32 v[8:9], s[28:29], v[178:179]
	v_mul_f64_e32 v[36:37], s[6:7], v[178:179]
	v_add_f64_e32 v[0:1], v[0:1], v[42:43]
	v_add_f64_e32 v[2:3], v[2:3], v[40:41]
	v_fma_f64 v[6:7], v[182:183], s[36:37], v[4:5]
	v_fma_f64 v[4:5], v[182:183], s[40:41], v[4:5]
	v_mul_f64_e32 v[40:41], s[40:41], v[162:163]
	v_mul_f64_e32 v[42:43], s[54:55], v[162:163]
	v_add_f64_e32 v[36:37], v[38:39], v[36:37]
	v_mul_f64_e32 v[38:39], s[38:39], v[162:163]
	v_add_f64_e32 v[0:1], v[0:1], v[46:47]
	v_add_f64_e32 v[2:3], v[2:3], v[44:45]
	;; [unrolled: 1-line block ×4, first 2 shown]
	v_fma_f64 v[46:47], v[156:157], s[30:31], v[40:41]
	v_fma_f64 v[40:41], v[156:157], s[30:31], -v[40:41]
	v_fma_f64 v[44:45], v[156:157], s[34:35], v[38:39]
	v_fma_f64 v[38:39], v[156:157], s[34:35], -v[38:39]
	v_add_f64_e32 v[0:1], v[0:1], v[50:51]
	v_add_f64_e32 v[2:3], v[2:3], v[48:49]
	v_mul_f64_e32 v[50:51], s[6:7], v[156:157]
	v_fma_f64 v[48:49], v[156:157], s[28:29], v[42:43]
	v_fma_f64 v[42:43], v[156:157], s[28:29], -v[42:43]
	v_add_f64_e32 v[46:47], v[20:21], v[46:47]
	v_add_f64_e32 v[44:45], v[20:21], v[44:45]
	;; [unrolled: 1-line block ×5, first 2 shown]
	v_dual_mov_b32 v52, v225 :: v_dual_mov_b32 v53, v226
	v_dual_mov_b32 v226, v222 :: v_dual_mov_b32 v225, v221
	;; [unrolled: 1-line block ×4, first 2 shown]
	v_fma_f64 v[10:11], v[182:183], s[52:53], v[8:9]
	v_fma_f64 v[8:9], v[182:183], s[54:55], v[8:9]
	v_add_f64_e64 v[50:51], v[50:51], -v[52:53]
	v_add_f64_e32 v[52:53], v[20:21], v[42:43]
	v_add_f64_e32 v[0:1], v[0:1], v[58:59]
	;; [unrolled: 1-line block ×4, first 2 shown]
	v_mul_f64_e32 v[58:59], s[54:55], v[136:137]
	v_add_f64_e32 v[10:11], v[22:23], v[10:11]
	v_add_f64_e32 v[8:9], v[22:23], v[8:9]
	;; [unrolled: 1-line block ×5, first 2 shown]
	v_mul_f64_e32 v[62:63], s[16:17], v[144:145]
	s_delay_alu instid0(VALU_DEP_4) | instskip(NEXT) | instid1(VALU_DEP_4)
	v_add_f64_e32 v[0:1], v[0:1], v[70:71]
	v_add_f64_e32 v[2:3], v[2:3], v[68:69]
	v_mul_f64_e32 v[68:69], s[44:45], v[168:169]
	v_mul_f64_e32 v[70:71], s[24:25], v[152:153]
	s_delay_alu instid0(VALU_DEP_4) | instskip(NEXT) | instid1(VALU_DEP_4)
	v_add_f64_e32 v[0:1], v[0:1], v[74:75]
	v_add_f64_e32 v[2:3], v[2:3], v[72:73]
	v_mul_f64_e32 v[72:73], s[26:27], v[172:173]
	;; [unrolled: 5-line block ×3, first 2 shown]
	s_delay_alu instid0(VALU_DEP_3) | instskip(NEXT) | instid1(VALU_DEP_3)
	v_add_f64_e32 v[0:1], v[0:1], v[82:83]
	v_add_f64_e32 v[2:3], v[2:3], v[80:81]
	v_mul_f64_e32 v[80:81], s[10:11], v[152:153]
	v_mul_f64_e32 v[82:83], s[48:49], v[172:173]
	s_delay_alu instid0(VALU_DEP_4) | instskip(NEXT) | instid1(VALU_DEP_4)
	v_add_f64_e32 v[0:1], v[0:1], v[86:87]
	v_add_f64_e32 v[2:3], v[2:3], v[84:85]
	v_mul_f64_e32 v[84:85], s[24:25], v[164:165]
	scratch_load_b64 v[86:87], off, off offset:136 th:TH_LOAD_LU ; 8-byte Folded Reload
	v_add_f64_e32 v[0:1], v[0:1], v[66:67]
	v_add_f64_e32 v[2:3], v[2:3], v[64:65]
	;; [unrolled: 1-line block ×4, first 2 shown]
	v_mul_f64_e32 v[36:37], s[10:11], v[120:121]
	v_mul_f64_e32 v[50:51], s[28:29], v[132:133]
	v_add_f64_e32 v[0:1], v[0:1], v[34:35]
	v_add_f64_e32 v[2:3], v[2:3], v[32:33]
	v_mul_f64_e32 v[32:33], s[10:11], v[178:179]
	v_mul_f64_e32 v[34:35], s[10:11], v[156:157]
	s_delay_alu instid0(VALU_DEP_4) | instskip(NEXT) | instid1(VALU_DEP_4)
	v_add_f64_e32 v[0:1], v[0:1], v[30:31]
	v_add_f64_e32 v[2:3], v[2:3], v[28:29]
	v_mul_f64_e32 v[28:29], s[16:17], v[178:179]
	v_mul_f64_e32 v[30:31], s[16:17], v[156:157]
	v_add_f64_e32 v[32:33], v[196:197], v[32:33]
	v_add_f64_e64 v[34:35], v[34:35], -v[194:195]
	scratch_load_b64 v[194:195], off, off offset:104 th:TH_LOAD_LU ; 8-byte Folded Reload
	v_add_f64_e32 v[26:27], v[0:1], v[26:27]
	v_mul_f64_e32 v[0:1], s[34:35], v[178:179]
	v_add_f64_e32 v[24:25], v[2:3], v[24:25]
	v_add_f64_e32 v[28:29], v[200:201], v[28:29]
	v_add_f64_e64 v[30:31], v[30:31], -v[198:199]
	v_add_f64_e32 v[48:49], v[22:23], v[32:33]
	v_add_f64_e32 v[54:55], v[20:21], v[34:35]
	v_mul_f64_e32 v[32:33], s[30:31], v[108:109]
	v_mul_f64_e32 v[34:35], s[40:41], v[114:115]
	v_fma_f64 v[2:3], v[182:183], s[46:47], v[0:1]
	v_fma_f64 v[0:1], v[182:183], s[38:39], v[0:1]
	v_dual_mov_b32 v183, v13 :: v_dual_mov_b32 v182, v12
	v_mul_f64_e32 v[12:13], s[24:25], v[178:179]
	v_add_f64_e32 v[40:41], v[22:23], v[28:29]
	v_mul_f64_e32 v[28:29], s[6:7], v[96:97]
	v_add_f64_e32 v[42:43], v[20:21], v[30:31]
	;; [unrolled: 2-line block ×3, first 2 shown]
	v_add_f64_e32 v[0:1], v[22:23], v[0:1]
	v_add_f64_e32 v[12:13], v[208:209], v[12:13]
	v_dual_mov_b32 v209, v15 :: v_dual_mov_b32 v208, v14
	v_mul_f64_e32 v[14:15], s[24:25], v[156:157]
	s_delay_alu instid0(VALU_DEP_3) | instskip(NEXT) | instid1(VALU_DEP_2)
	v_add_f64_e32 v[12:13], v[22:23], v[12:13]
	v_add_f64_e64 v[14:15], v[14:15], -v[206:207]
	v_dual_mov_b32 v207, v17 :: v_dual_mov_b32 v206, v16
	v_mul_f64_e32 v[16:17], s[20:21], v[178:179]
	scratch_load_b64 v[178:179], off, off offset:88 th:TH_LOAD_LU ; 8-byte Folded Reload
	v_add_f64_e32 v[14:15], v[20:21], v[14:15]
	v_add_f64_e32 v[16:17], v[204:205], v[16:17]
	v_dual_mov_b32 v205, v19 :: v_dual_mov_b32 v204, v18
	v_mul_f64_e32 v[18:19], s[20:21], v[156:157]
	s_clause 0x1
	scratch_load_b64 v[156:157], off, off offset:264 th:TH_LOAD_LU
	scratch_load_b64 v[162:163], off, off offset:184 th:TH_LOAD_LU
	v_add_f64_e32 v[16:17], v[22:23], v[16:17]
	v_fma_f64 v[22:23], v[112:113], s[36:37], v[32:33]
	v_add_f64_e64 v[18:19], v[18:19], -v[202:203]
	s_delay_alu instid0(VALU_DEP_1) | instskip(SKIP_2) | instid1(VALU_DEP_2)
	v_add_f64_e32 v[18:19], v[20:21], v[18:19]
	v_fma_f64 v[20:21], v[100:101], s[0:1], v[28:29]
	v_fma_f64 v[28:29], v[100:101], s[42:43], v[28:29]
	v_add_f64_e32 v[2:3], v[20:21], v[2:3]
	v_fma_f64 v[20:21], v[88:89], s[6:7], v[30:31]
	s_delay_alu instid0(VALU_DEP_3)
	v_add_f64_e32 v[0:1], v[28:29], v[0:1]
	v_fma_f64 v[28:29], v[88:89], s[6:7], -v[30:31]
	v_fma_f64 v[30:31], v[112:113], s[40:41], v[32:33]
	v_add_f64_e32 v[2:3], v[22:23], v[2:3]
	v_add_f64_e32 v[20:21], v[20:21], v[44:45]
	v_fma_f64 v[22:23], v[92:93], s[30:31], v[34:35]
	v_mul_f64_e32 v[44:45], s[48:49], v[124:125]
	v_add_f64_e32 v[28:29], v[28:29], v[38:39]
	v_add_f64_e32 v[0:1], v[30:31], v[0:1]
	v_fma_f64 v[30:31], v[92:93], s[30:31], -v[34:35]
	v_mul_f64_e32 v[38:39], s[30:31], v[132:133]
	v_add_f64_e32 v[20:21], v[22:23], v[20:21]
	v_fma_f64 v[22:23], v[126:127], s[14:15], v[36:37]
	s_delay_alu instid0(VALU_DEP_4) | instskip(SKIP_1) | instid1(VALU_DEP_3)
	v_add_f64_e32 v[28:29], v[30:31], v[28:29]
	v_fma_f64 v[30:31], v[126:127], s[48:49], v[36:37]
	v_add_f64_e32 v[2:3], v[22:23], v[2:3]
	v_fma_f64 v[22:23], v[104:105], s[10:11], v[44:45]
	s_delay_alu instid0(VALU_DEP_3)
	v_add_f64_e32 v[0:1], v[30:31], v[0:1]
	v_fma_f64 v[30:31], v[104:105], s[10:11], -v[44:45]
	scratch_load_b64 v[44:45], off, off offset:272 th:TH_LOAD_LU ; 8-byte Folded Reload
	v_add_f64_e32 v[20:21], v[22:23], v[20:21]
	v_fma_f64 v[22:23], v[142:143], s[52:53], v[50:51]
	v_add_f64_e32 v[28:29], v[30:31], v[28:29]
	v_fma_f64 v[30:31], v[142:143], s[54:55], v[50:51]
	scratch_load_b64 v[50:51], off, off offset:168 th:TH_LOAD_LU ; 8-byte Folded Reload
	v_add_f64_e32 v[2:3], v[22:23], v[2:3]
	v_fma_f64 v[22:23], v[116:117], s[28:29], v[58:59]
	v_add_f64_e32 v[0:1], v[30:31], v[0:1]
	v_fma_f64 v[30:31], v[116:117], s[28:29], -v[58:59]
	v_mul_f64_e32 v[58:59], s[20:21], v[108:109]
	s_delay_alu instid0(VALU_DEP_4) | instskip(SKIP_1) | instid1(VALU_DEP_4)
	v_add_f64_e32 v[20:21], v[22:23], v[20:21]
	v_fma_f64 v[22:23], v[160:161], s[18:19], v[62:63]
	v_add_f64_e32 v[28:29], v[30:31], v[28:29]
	v_fma_f64 v[30:31], v[160:161], s[44:45], v[62:63]
	v_fma_f64 v[34:35], v[112:113], s[56:57], v[58:59]
	v_mul_f64_e32 v[62:63], s[22:23], v[114:115]
	v_add_f64_e32 v[2:3], v[22:23], v[2:3]
	v_fma_f64 v[22:23], v[128:129], s[16:17], v[68:69]
	v_add_f64_e32 v[0:1], v[30:31], v[0:1]
	v_fma_f64 v[30:31], v[128:129], s[16:17], -v[68:69]
	v_mul_f64_e32 v[68:69], s[28:29], v[120:121]
	s_delay_alu instid0(VALU_DEP_4) | instskip(SKIP_1) | instid1(VALU_DEP_4)
	v_add_f64_e32 v[20:21], v[22:23], v[20:21]
	v_fma_f64 v[22:23], v[170:171], s[50:51], v[70:71]
	v_add_f64_e32 v[28:29], v[30:31], v[28:29]
	v_fma_f64 v[30:31], v[170:171], s[26:27], v[70:71]
	v_mul_f64_e32 v[70:71], s[52:53], v[124:125]
	s_delay_alu instid0(VALU_DEP_4) | instskip(SKIP_1) | instid1(VALU_DEP_4)
	v_add_f64_e32 v[2:3], v[22:23], v[2:3]
	v_fma_f64 v[22:23], v[138:139], s[24:25], v[72:73]
	v_add_f64_e32 v[0:1], v[30:31], v[0:1]
	v_fma_f64 v[30:31], v[138:139], s[24:25], -v[72:73]
	v_mul_f64_e32 v[72:73], s[6:7], v[132:133]
	s_delay_alu instid0(VALU_DEP_4) | instskip(SKIP_1) | instid1(VALU_DEP_4)
	v_add_f64_e32 v[20:21], v[22:23], v[20:21]
	v_fma_f64 v[22:23], v[174:175], s[22:23], v[74:75]
	v_add_f64_e32 v[28:29], v[30:31], v[28:29]
	v_fma_f64 v[30:31], v[174:175], s[56:57], v[74:75]
	v_mul_f64_e32 v[74:75], s[0:1], v[136:137]
	s_delay_alu instid0(VALU_DEP_4) | instskip(SKIP_1) | instid1(VALU_DEP_4)
	v_add_f64_e32 v[22:23], v[22:23], v[2:3]
	v_mul_f64_e32 v[2:3], s[56:57], v[176:177]
	v_add_f64_e32 v[30:31], v[30:31], v[0:1]
	v_mul_f64_e32 v[0:1], s[16:17], v[96:97]
	s_wait_loadcnt 0x1
	v_add_f64_e32 v[38:39], v[44:45], v[38:39]
	v_mul_f64_e32 v[44:45], s[34:35], v[120:121]
	v_fma_f64 v[76:77], v[148:149], s[20:21], v[2:3]
	v_fma_f64 v[2:3], v[148:149], s[20:21], -v[2:3]
	s_delay_alu instid0(VALU_DEP_2) | instskip(NEXT) | instid1(VALU_DEP_2)
	v_add_f64_e32 v[20:21], v[76:77], v[20:21]
	v_add_f64_e32 v[28:29], v[2:3], v[28:29]
	v_fma_f64 v[2:3], v[100:101], s[18:19], v[0:1]
	v_mul_f64_e32 v[76:77], s[34:35], v[144:145]
	v_fma_f64 v[0:1], v[100:101], s[44:45], v[0:1]
	s_delay_alu instid0(VALU_DEP_3) | instskip(SKIP_1) | instid1(VALU_DEP_3)
	v_add_f64_e32 v[2:3], v[2:3], v[6:7]
	v_mul_f64_e32 v[6:7], s[44:45], v[102:103]
	v_add_f64_e32 v[0:1], v[0:1], v[4:5]
	s_delay_alu instid0(VALU_DEP_3) | instskip(NEXT) | instid1(VALU_DEP_3)
	v_add_f64_e32 v[2:3], v[34:35], v[2:3]
	v_fma_f64 v[32:33], v[88:89], s[16:17], v[6:7]
	v_fma_f64 v[34:35], v[92:93], s[20:21], v[62:63]
	v_fma_f64 v[4:5], v[88:89], s[16:17], -v[6:7]
	v_fma_f64 v[6:7], v[112:113], s[22:23], v[58:59]
	s_delay_alu instid0(VALU_DEP_4)
	v_add_f64_e32 v[32:33], v[32:33], v[46:47]
	scratch_load_b64 v[46:47], off, off offset:224 th:TH_LOAD_LU ; 8-byte Folded Reload
	v_add_f64_e32 v[4:5], v[4:5], v[56:57]
	v_add_f64_e32 v[0:1], v[6:7], v[0:1]
	v_fma_f64 v[6:7], v[92:93], s[20:21], -v[62:63]
	v_add_f64_e32 v[32:33], v[34:35], v[32:33]
	v_fma_f64 v[34:35], v[126:127], s[54:55], v[68:69]
	s_delay_alu instid0(VALU_DEP_3) | instskip(SKIP_1) | instid1(VALU_DEP_3)
	v_add_f64_e32 v[4:5], v[6:7], v[4:5]
	v_fma_f64 v[6:7], v[126:127], s[52:53], v[68:69]
	v_add_f64_e32 v[2:3], v[34:35], v[2:3]
	v_fma_f64 v[34:35], v[104:105], s[28:29], v[70:71]
	s_delay_alu instid0(VALU_DEP_3) | instskip(SKIP_1) | instid1(VALU_DEP_3)
	v_add_f64_e32 v[0:1], v[6:7], v[0:1]
	v_fma_f64 v[6:7], v[104:105], s[28:29], -v[70:71]
	v_add_f64_e32 v[32:33], v[34:35], v[32:33]
	v_fma_f64 v[34:35], v[142:143], s[42:43], v[72:73]
	s_delay_alu instid0(VALU_DEP_3) | instskip(SKIP_1) | instid1(VALU_DEP_3)
	v_add_f64_e32 v[4:5], v[6:7], v[4:5]
	v_fma_f64 v[6:7], v[142:143], s[0:1], v[72:73]
	v_add_f64_e32 v[2:3], v[34:35], v[2:3]
	v_fma_f64 v[34:35], v[116:117], s[6:7], v[74:75]
	s_delay_alu instid0(VALU_DEP_3) | instskip(SKIP_1) | instid1(VALU_DEP_3)
	;; [unrolled: 10-line block ×3, first 2 shown]
	v_add_f64_e32 v[0:1], v[6:7], v[0:1]
	v_fma_f64 v[6:7], v[128:129], s[34:35], -v[78:79]
	v_add_f64_e32 v[32:33], v[34:35], v[32:33]
	v_fma_f64 v[34:35], v[170:171], s[14:15], v[80:81]
	s_delay_alu instid0(VALU_DEP_3) | instskip(SKIP_1) | instid1(VALU_DEP_3)
	v_add_f64_e32 v[4:5], v[6:7], v[4:5]
	v_fma_f64 v[6:7], v[170:171], s[48:49], v[80:81]
	v_add_f64_e32 v[2:3], v[34:35], v[2:3]
	v_fma_f64 v[34:35], v[138:139], s[10:11], v[82:83]
	s_delay_alu instid0(VALU_DEP_3)
	v_add_f64_e32 v[0:1], v[6:7], v[0:1]
	v_fma_f64 v[6:7], v[138:139], s[10:11], -v[82:83]
	s_wait_loadcnt 0x0
	v_add_f64_e32 v[44:45], v[46:47], v[44:45]
	v_mul_f64_e32 v[46:47], s[28:29], v[108:109]
	v_add_f64_e32 v[32:33], v[34:35], v[32:33]
	v_fma_f64 v[34:35], v[174:175], s[50:51], v[84:85]
	v_add_f64_e32 v[4:5], v[6:7], v[4:5]
	v_fma_f64 v[6:7], v[174:175], s[26:27], v[84:85]
	v_add_f64_e32 v[46:47], v[50:51], v[46:47]
	v_mul_f64_e32 v[50:51], s[20:21], v[96:97]
	v_add_f64_e32 v[34:35], v[34:35], v[2:3]
	v_mul_f64_e32 v[2:3], s[26:27], v[176:177]
	v_add_f64_e32 v[58:59], v[6:7], v[0:1]
	s_delay_alu instid0(VALU_DEP_4) | instskip(SKIP_1) | instid1(VALU_DEP_4)
	v_add_f64_e32 v[50:51], v[86:87], v[50:51]
	v_mul_f64_e32 v[86:87], s[24:25], v[128:129]
	v_fma_f64 v[36:37], v[148:149], s[24:25], v[2:3]
	v_fma_f64 v[2:3], v[148:149], s[24:25], -v[2:3]
	s_delay_alu instid0(VALU_DEP_4) | instskip(NEXT) | instid1(VALU_DEP_4)
	v_add_f64_e32 v[48:49], v[50:51], v[48:49]
	v_add_f64_e64 v[86:87], v[86:87], -v[156:157]
	v_mul_f64_e32 v[156:157], s[30:31], v[116:117]
	v_add_f64_e32 v[32:33], v[36:37], v[32:33]
	v_mul_f64_e32 v[36:37], s[24:25], v[144:145]
	v_add_f64_e32 v[56:57], v[2:3], v[4:5]
	v_add_f64_e32 v[46:47], v[46:47], v[48:49]
	v_add_f64_e64 v[156:157], v[156:157], -v[162:163]
	v_mul_f64_e32 v[162:163], s[20:21], v[88:89]
	v_add_f64_e32 v[36:37], v[237:238], v[36:37]
	s_delay_alu instid0(VALU_DEP_4) | instskip(NEXT) | instid1(VALU_DEP_3)
	v_add_f64_e32 v[44:45], v[44:45], v[46:47]
	v_add_f64_e64 v[162:163], v[162:163], -v[178:179]
	v_mul_f64_e32 v[178:179], s[28:29], v[92:93]
	s_delay_alu instid0(VALU_DEP_3) | instskip(NEXT) | instid1(VALU_DEP_3)
	v_add_f64_e32 v[38:39], v[38:39], v[44:45]
	v_add_f64_e32 v[50:51], v[162:163], v[54:55]
	scratch_load_b64 v[162:163], off, off offset:120 th:TH_LOAD_LU ; 8-byte Folded Reload
	v_add_f64_e64 v[178:179], v[178:179], -v[194:195]
	v_mul_f64_e32 v[54:55], s[34:35], v[104:105]
	v_add_f64_e32 v[36:37], v[36:37], v[38:39]
	s_delay_alu instid0(VALU_DEP_3) | instskip(SKIP_2) | instid1(VALU_DEP_4)
	v_add_f64_e32 v[48:49], v[178:179], v[50:51]
	v_mul_f64_e32 v[50:51], s[16:17], v[152:153]
	s_wait_loadcnt 0x0
	v_add_f64_e64 v[54:55], v[54:55], -v[162:163]
	scratch_load_b64 v[162:163], off, off offset:240 th:TH_LOAD_LU ; 8-byte Folded Reload
	v_add_f64_e32 v[46:47], v[54:55], v[48:49]
	scratch_load_b64 v[54:55], off, off offset:200 th:TH_LOAD_LU ; 8-byte Folded Reload
	v_mul_f64_e32 v[48:49], s[16:17], v[138:139]
	v_add_f64_e32 v[44:45], v[156:157], v[46:47]
	v_mul_f64_e32 v[46:47], s[6:7], v[164:165]
	s_delay_alu instid0(VALU_DEP_2)
	v_add_f64_e32 v[38:39], v[86:87], v[44:45]
	v_mul_f64_e32 v[44:45], s[6:7], v[148:149]
	scratch_load_b64 v[86:87], off, off offset:248 th:TH_LOAD_LU ; 8-byte Folded Reload
	s_wait_loadcnt 0x2
	v_add_f64_e32 v[50:51], v[162:163], v[50:51]
	s_clause 0x1
	scratch_load_b64 v[162:163], off, off offset:216 th:TH_LOAD_LU
	scratch_load_b64 v[156:157], off, off offset:152 th:TH_LOAD_LU
	s_wait_loadcnt 0x3
	v_add_f64_e64 v[48:49], v[48:49], -v[54:55]
	scratch_load_b64 v[54:55], off, off offset:280 th:TH_LOAD_LU ; 8-byte Folded Reload
	v_add_f64_e32 v[36:37], v[50:51], v[36:37]
	v_mul_f64_e32 v[50:51], s[34:35], v[108:109]
	v_add_f64_e32 v[48:49], v[48:49], v[38:39]
	s_wait_loadcnt 0x0
	v_add_f64_e32 v[46:47], v[54:55], v[46:47]
	scratch_load_b64 v[54:55], off, off offset:208 th:TH_LOAD_LU ; 8-byte Folded Reload
	v_add_f64_e32 v[38:39], v[46:47], v[36:37]
	v_mul_f64_e32 v[46:47], s[10:11], v[132:133]
	s_delay_alu instid0(VALU_DEP_1) | instskip(SKIP_1) | instid1(VALU_DEP_1)
	v_add_f64_e32 v[46:47], v[106:107], v[46:47]
	v_mul_f64_e32 v[106:107], s[10:11], v[116:117]
	v_add_f64_e64 v[106:107], v[106:107], -v[235:236]
	s_wait_loadcnt 0x0
	v_add_f64_e64 v[44:45], v[44:45], -v[54:55]
	scratch_load_b64 v[54:55], off, off offset:296 th:TH_LOAD_LU ; 8-byte Folded Reload
	v_add_f64_e32 v[36:37], v[44:45], v[48:49]
	v_mul_f64_e32 v[44:45], s[6:7], v[144:145]
	v_mul_f64_e32 v[48:49], s[24:25], v[120:121]
	s_delay_alu instid0(VALU_DEP_2) | instskip(SKIP_1) | instid1(VALU_DEP_3)
	v_add_f64_e32 v[44:45], v[154:155], v[44:45]
	v_mul_f64_e32 v[154:155], s[28:29], v[88:89]
	v_add_f64_e32 v[48:49], v[239:240], v[48:49]
	s_delay_alu instid0(VALU_DEP_2) | instskip(SKIP_1) | instid1(VALU_DEP_2)
	v_add_f64_e64 v[154:155], v[154:155], -v[156:157]
	v_mul_f64_e32 v[156:157], s[34:35], v[92:93]
	v_add_f64_e32 v[42:43], v[154:155], v[42:43]
	scratch_load_b64 v[154:155], off, off offset:232 th:TH_LOAD_LU ; 8-byte Folded Reload
	v_add_f64_e64 v[156:157], v[156:157], -v[162:163]
	s_delay_alu instid0(VALU_DEP_1) | instskip(SKIP_3) | instid1(VALU_DEP_1)
	v_add_f64_e32 v[42:43], v[156:157], v[42:43]
	s_wait_loadcnt 0x1
	v_add_f64_e32 v[50:51], v[54:55], v[50:51]
	v_mul_f64_e32 v[54:55], s[28:29], v[96:97]
	v_add_f64_e32 v[54:55], v[86:87], v[54:55]
	v_mul_f64_e32 v[86:87], s[6:7], v[128:129]
	s_delay_alu instid0(VALU_DEP_2) | instskip(SKIP_1) | instid1(VALU_DEP_3)
	v_add_f64_e32 v[40:41], v[54:55], v[40:41]
	v_mul_f64_e32 v[54:55], s[24:25], v[104:105]
	v_add_f64_e64 v[86:87], v[86:87], -v[253:254]
	s_delay_alu instid0(VALU_DEP_3) | instskip(SKIP_1) | instid1(VALU_DEP_2)
	v_add_f64_e32 v[40:41], v[50:51], v[40:41]
	v_mul_f64_e32 v[50:51], s[20:21], v[152:153]
	v_add_f64_e32 v[40:41], v[48:49], v[40:41]
	s_wait_loadcnt 0x0
	v_add_f64_e64 v[54:55], v[54:55], -v[154:155]
	v_mul_f64_e32 v[48:49], s[20:21], v[138:139]
	s_delay_alu instid0(VALU_DEP_4) | instskip(NEXT) | instid1(VALU_DEP_4)
	v_add_f64_e32 v[50:51], v[241:242], v[50:51]
	v_add_f64_e32 v[40:41], v[46:47], v[40:41]
	s_delay_alu instid0(VALU_DEP_4)
	v_add_f64_e32 v[42:43], v[54:55], v[42:43]
	scratch_load_b64 v[54:55], off, off offset:312 th:TH_LOAD_LU ; 8-byte Folded Reload
	v_mul_f64_e32 v[46:47], s[30:31], v[164:165]
	v_add_f64_e32 v[40:41], v[44:45], v[40:41]
	v_add_f64_e32 v[42:43], v[106:107], v[42:43]
	v_mul_f64_e32 v[44:45], s[30:31], v[148:149]
	s_delay_alu instid0(VALU_DEP_4)
	v_add_f64_e32 v[46:47], v[243:244], v[46:47]
	v_mul_f64_e32 v[106:107], s[16:17], v[116:117]
	v_add_f64_e32 v[40:41], v[50:51], v[40:41]
	v_add_f64_e32 v[42:43], v[86:87], v[42:43]
	v_mul_f64_e32 v[86:87], s[30:31], v[128:129]
	v_mul_f64_e32 v[50:51], s[24:25], v[108:109]
	v_add_f64_e64 v[98:99], v[106:107], -v[98:99]
	v_mul_f64_e32 v[106:107], s[34:35], v[88:89]
	s_delay_alu instid0(VALU_DEP_4) | instskip(NEXT) | instid1(VALU_DEP_4)
	v_add_f64_e64 v[86:87], v[86:87], -v[146:147]
	v_add_f64_e32 v[50:51], v[251:252], v[50:51]
	scratch_load_b64 v[146:147], off, off offset:304 th:TH_LOAD_LU ; 8-byte Folded Reload
	s_wait_loadcnt 0x1
	v_add_f64_e64 v[48:49], v[48:49], -v[54:55]
	scratch_load_b64 v[54:55], off, off offset:288 th:TH_LOAD_LU ; 8-byte Folded Reload
	v_add_f64_e32 v[48:49], v[48:49], v[42:43]
	v_add_f64_e32 v[42:43], v[46:47], v[40:41]
	v_mul_f64_e32 v[46:47], s[16:17], v[132:133]
	s_delay_alu instid0(VALU_DEP_1) | instskip(SKIP_3) | instid1(VALU_DEP_2)
	v_add_f64_e32 v[46:47], v[158:159], v[46:47]
	s_wait_loadcnt 0x0
	v_add_f64_e64 v[44:45], v[44:45], -v[54:55]
	v_mul_f64_e32 v[54:55], s[34:35], v[96:97]
	v_add_f64_e32 v[40:41], v[44:45], v[48:49]
	v_mul_f64_e32 v[48:49], s[6:7], v[120:121]
	s_delay_alu instid0(VALU_DEP_3) | instskip(SKIP_1) | instid1(VALU_DEP_3)
	v_add_f64_e32 v[54:55], v[233:234], v[54:55]
	v_mul_f64_e32 v[44:45], s[30:31], v[144:145]
	v_add_f64_e32 v[48:49], v[118:119], v[48:49]
	scratch_load_b64 v[118:119], off, off offset:256 th:TH_LOAD_LU ; 8-byte Folded Reload
	v_add_f64_e32 v[16:17], v[54:55], v[16:17]
	v_mul_f64_e32 v[54:55], s[6:7], v[104:105]
	v_add_f64_e32 v[44:45], v[188:189], v[44:45]
	s_delay_alu instid0(VALU_DEP_3) | instskip(NEXT) | instid1(VALU_DEP_3)
	v_add_f64_e32 v[16:17], v[50:51], v[16:17]
	v_add_f64_e64 v[54:55], v[54:55], -v[231:232]
	v_mul_f64_e32 v[50:51], s[28:29], v[152:153]
	s_delay_alu instid0(VALU_DEP_3) | instskip(SKIP_1) | instid1(VALU_DEP_3)
	v_add_f64_e32 v[16:17], v[48:49], v[16:17]
	v_mul_f64_e32 v[48:49], s[28:29], v[138:139]
	v_add_f64_e32 v[50:51], v[122:123], v[50:51]
	v_mul_f64_e32 v[122:123], s[44:45], v[176:177]
	s_delay_alu instid0(VALU_DEP_4) | instskip(NEXT) | instid1(VALU_DEP_4)
	v_add_f64_e32 v[16:17], v[46:47], v[16:17]
	v_add_f64_e64 v[48:49], v[48:49], -v[94:95]
	v_mul_f64_e32 v[94:95], s[30:31], v[88:89]
	v_mul_f64_e32 v[46:47], s[10:11], v[164:165]
	s_delay_alu instid0(VALU_DEP_4) | instskip(SKIP_1) | instid1(VALU_DEP_3)
	v_add_f64_e32 v[16:17], v[44:45], v[16:17]
	v_mul_f64_e32 v[44:45], s[10:11], v[148:149]
	v_add_f64_e32 v[46:47], v[110:111], v[46:47]
	v_mul_f64_e32 v[110:111], s[14:15], v[168:169]
	s_delay_alu instid0(VALU_DEP_4) | instskip(SKIP_2) | instid1(VALU_DEP_3)
	v_add_f64_e32 v[16:17], v[50:51], v[16:17]
	v_mul_f64_e32 v[50:51], s[10:11], v[108:109]
	v_add_f64_e64 v[44:45], v[44:45], -v[249:250]
	v_add_f64_e32 v[46:47], v[46:47], v[16:17]
	s_delay_alu instid0(VALU_DEP_3) | instskip(SKIP_1) | instid1(VALU_DEP_1)
	v_add_f64_e32 v[50:51], v[134:135], v[50:51]
	v_mul_f64_e32 v[16:17], s[20:21], v[144:145]
	v_add_f64_e32 v[16:17], v[192:193], v[16:17]
	s_wait_loadcnt 0x0
	v_add_f64_e64 v[106:107], v[106:107], -v[118:119]
	v_mul_f64_e32 v[118:119], s[24:25], v[92:93]
	s_delay_alu instid0(VALU_DEP_2) | instskip(NEXT) | instid1(VALU_DEP_2)
	v_add_f64_e32 v[18:19], v[106:107], v[18:19]
	v_add_f64_e64 v[118:119], v[118:119], -v[146:147]
	v_mul_f64_e32 v[106:107], s[10:11], v[144:145]
	s_delay_alu instid0(VALU_DEP_2) | instskip(SKIP_1) | instid1(VALU_DEP_3)
	v_add_f64_e32 v[18:19], v[118:119], v[18:19]
	v_mul_f64_e32 v[118:119], s[38:39], v[172:173]
	v_fma_f64 v[4:5], v[160:161], s[48:49], v[106:107]
	s_delay_alu instid0(VALU_DEP_3) | instskip(SKIP_1) | instid1(VALU_DEP_2)
	v_add_f64_e32 v[18:19], v[54:55], v[18:19]
	v_mul_f64_e32 v[54:55], s[30:31], v[96:97]
	v_add_f64_e32 v[18:19], v[98:99], v[18:19]
	scratch_load_b64 v[98:99], off, off offset:320 th:TH_LOAD_LU ; 8-byte Folded Reload
	v_add_f64_e32 v[54:55], v[90:91], v[54:55]
	v_mul_f64_e32 v[90:91], s[34:35], v[116:117]
	v_add_f64_e32 v[18:19], v[86:87], v[18:19]
	v_mul_f64_e32 v[86:87], s[20:21], v[128:129]
	s_delay_alu instid0(VALU_DEP_4)
	v_add_f64_e32 v[12:13], v[54:55], v[12:13]
	v_mul_f64_e32 v[54:55], s[16:17], v[104:105]
	v_add_f64_e64 v[90:91], v[90:91], -v[150:151]
	v_add_f64_e32 v[18:19], v[48:49], v[18:19]
	v_mul_f64_e32 v[48:49], s[16:17], v[120:121]
	v_add_f64_e32 v[12:13], v[50:51], v[12:13]
	v_add_f64_e64 v[54:55], v[54:55], -v[247:248]
	v_mul_f64_e32 v[50:51], s[6:7], v[152:153]
	v_add_f64_e64 v[86:87], v[86:87], -v[186:187]
	v_add_f64_e32 v[44:45], v[44:45], v[18:19]
	v_mul_f64_e32 v[18:19], s[34:35], v[132:133]
	v_add_f64_e32 v[48:49], v[180:181], v[48:49]
	v_add_f64_e32 v[50:51], v[184:185], v[50:51]
	s_delay_alu instid0(VALU_DEP_3) | instskip(NEXT) | instid1(VALU_DEP_3)
	v_add_f64_e32 v[18:19], v[190:191], v[18:19]
	v_add_f64_e32 v[12:13], v[48:49], v[12:13]
	v_mul_f64_e32 v[48:49], s[6:7], v[138:139]
	s_delay_alu instid0(VALU_DEP_2) | instskip(SKIP_1) | instid1(VALU_DEP_3)
	v_add_f64_e32 v[12:13], v[18:19], v[12:13]
	v_mul_f64_e32 v[18:19], s[28:29], v[164:165]
	v_add_f64_e64 v[48:49], v[48:49], -v[140:141]
	s_delay_alu instid0(VALU_DEP_3) | instskip(NEXT) | instid1(VALU_DEP_3)
	v_add_f64_e32 v[12:13], v[16:17], v[12:13]
	v_add_f64_e32 v[18:19], v[166:167], v[18:19]
	v_mul_f64_e32 v[16:17], s[28:29], v[148:149]
	s_delay_alu instid0(VALU_DEP_3) | instskip(NEXT) | instid1(VALU_DEP_2)
	v_add_f64_e32 v[12:13], v[50:51], v[12:13]
	v_add_f64_e64 v[16:17], v[16:17], -v[130:131]
	s_delay_alu instid0(VALU_DEP_2)
	v_add_f64_e32 v[50:51], v[18:19], v[12:13]
	v_mul_f64_e32 v[12:13], s[24:25], v[96:97]
	v_mul_f64_e32 v[18:19], s[6:7], v[108:109]
	s_wait_loadcnt 0x0
	v_add_f64_e64 v[94:95], v[94:95], -v[98:99]
	v_mul_f64_e32 v[98:99], s[10:11], v[92:93]
	s_delay_alu instid0(VALU_DEP_4) | instskip(NEXT) | instid1(VALU_DEP_3)
	v_fma_f64 v[0:1], v[100:101], s[26:27], v[12:13]
	v_add_f64_e32 v[14:15], v[94:95], v[14:15]
	s_delay_alu instid0(VALU_DEP_3) | instskip(SKIP_3) | instid1(VALU_DEP_4)
	v_add_f64_e64 v[98:99], v[98:99], -v[245:246]
	v_mul_f64_e32 v[94:95], s[40:41], v[124:125]
	v_mul_f64_e32 v[124:125], s[16:17], v[164:165]
	v_add_f64_e32 v[0:1], v[0:1], v[10:11]
	v_add_f64_e32 v[14:15], v[98:99], v[14:15]
	v_mul_f64_e32 v[98:99], s[20:21], v[132:133]
	s_delay_alu instid0(VALU_DEP_2) | instskip(NEXT) | instid1(VALU_DEP_2)
	v_add_f64_e32 v[14:15], v[54:55], v[14:15]
	v_fma_f64 v[6:7], v[142:143], s[22:23], v[98:99]
	s_delay_alu instid0(VALU_DEP_2) | instskip(SKIP_1) | instid1(VALU_DEP_2)
	v_add_f64_e32 v[14:15], v[90:91], v[14:15]
	v_mul_f64_e32 v[90:91], s[30:31], v[120:121]
	v_add_f64_e32 v[14:15], v[86:87], v[14:15]
	v_mul_f64_e32 v[86:87], s[0:1], v[114:115]
	v_mul_f64_e32 v[114:115], s[34:35], v[152:153]
	s_delay_alu instid0(VALU_DEP_3) | instskip(NEXT) | instid1(VALU_DEP_2)
	v_add_f64_e32 v[14:15], v[48:49], v[14:15]
	v_fma_f64 v[2:3], v[170:171], s[46:47], v[114:115]
	s_delay_alu instid0(VALU_DEP_2) | instskip(SKIP_2) | instid1(VALU_DEP_2)
	v_add_f64_e32 v[48:49], v[16:17], v[14:15]
	v_fma_f64 v[14:15], v[100:101], s[50:51], v[12:13]
	v_fma_f64 v[12:13], v[112:113], s[42:43], v[18:19]
	v_add_f64_e32 v[8:9], v[14:15], v[8:9]
	v_mul_f64_e32 v[14:15], s[50:51], v[102:103]
	v_mul_f64_e32 v[102:103], s[56:57], v[136:137]
	s_delay_alu instid0(VALU_DEP_4) | instskip(SKIP_1) | instid1(VALU_DEP_4)
	v_add_f64_e32 v[0:1], v[12:13], v[0:1]
	v_fma_f64 v[12:13], v[92:93], s[6:7], v[86:87]
	v_fma_f64 v[16:17], v[88:89], s[24:25], -v[14:15]
	v_fma_f64 v[10:11], v[88:89], s[24:25], v[14:15]
	v_mul_f64_e32 v[14:15], s[10:11], v[88:89]
	s_delay_alu instid0(VALU_DEP_3) | instskip(SKIP_1) | instid1(VALU_DEP_4)
	v_add_f64_e32 v[16:17], v[16:17], v[52:53]
	v_fma_f64 v[52:53], v[112:113], s[0:1], v[18:19]
	v_add_f64_e32 v[10:11], v[10:11], v[60:61]
	s_delay_alu instid0(VALU_DEP_4) | instskip(SKIP_1) | instid1(VALU_DEP_4)
	v_add_f64_e64 v[14:15], v[14:15], -v[223:224]
	v_mul_f64_e32 v[18:19], s[20:21], v[104:105]
	v_add_f64_e32 v[8:9], v[52:53], v[8:9]
	v_fma_f64 v[52:53], v[92:93], s[6:7], -v[86:87]
	v_add_f64_e32 v[10:11], v[12:13], v[10:11]
	v_add_f64_e32 v[14:15], v[14:15], v[66:67]
	v_mul_f64_e32 v[12:13], s[24:25], v[116:117]
	v_add_f64_e64 v[18:19], v[18:19], -v[208:209]
	v_add_f64_e32 v[16:17], v[52:53], v[16:17]
	v_fma_f64 v[52:53], v[126:127], s[40:41], v[90:91]
	s_delay_alu instid0(VALU_DEP_4) | instskip(NEXT) | instid1(VALU_DEP_2)
	v_add_f64_e64 v[12:13], v[12:13], -v[204:205]
	v_add_f64_e32 v[8:9], v[52:53], v[8:9]
	v_fma_f64 v[52:53], v[104:105], s[30:31], -v[94:95]
	s_delay_alu instid0(VALU_DEP_1) | instskip(SKIP_1) | instid1(VALU_DEP_1)
	v_add_f64_e32 v[16:17], v[52:53], v[16:17]
	v_fma_f64 v[52:53], v[142:143], s[56:57], v[98:99]
	v_add_f64_e32 v[8:9], v[52:53], v[8:9]
	v_fma_f64 v[52:53], v[116:117], s[20:21], -v[102:103]
	s_delay_alu instid0(VALU_DEP_1) | instskip(SKIP_1) | instid1(VALU_DEP_1)
	v_add_f64_e32 v[16:17], v[52:53], v[16:17]
	v_fma_f64 v[52:53], v[160:161], s[14:15], v[106:107]
	;; [unrolled: 5-line block ×4, first 2 shown]
	v_add_f64_e32 v[54:55], v[52:53], v[8:9]
	v_fma_f64 v[8:9], v[148:149], s[16:17], -v[122:123]
	s_delay_alu instid0(VALU_DEP_1) | instskip(SKIP_2) | instid1(VALU_DEP_2)
	v_add_f64_e32 v[52:53], v[8:9], v[16:17]
	v_fma_f64 v[8:9], v[126:127], s[36:37], v[90:91]
	v_fma_f64 v[16:17], v[174:175], s[18:19], v[124:125]
	v_add_f64_e32 v[0:1], v[8:9], v[0:1]
	v_fma_f64 v[8:9], v[104:105], s[30:31], v[94:95]
	s_delay_alu instid0(VALU_DEP_2) | instskip(NEXT) | instid1(VALU_DEP_2)
	v_add_f64_e32 v[0:1], v[6:7], v[0:1]
	v_add_f64_e32 v[8:9], v[8:9], v[10:11]
	v_fma_f64 v[6:7], v[116:117], s[20:21], v[102:103]
	v_mul_f64_e32 v[10:11], s[28:29], v[128:129]
	s_delay_alu instid0(VALU_DEP_4) | instskip(SKIP_1) | instid1(VALU_DEP_4)
	v_add_f64_e32 v[0:1], v[4:5], v[0:1]
	v_fma_f64 v[4:5], v[128:129], s[10:11], v[110:111]
	v_add_f64_e32 v[6:7], v[6:7], v[8:9]
	v_mul_f64_e32 v[8:9], s[10:11], v[96:97]
	v_add_f64_e64 v[10:11], v[10:11], -v[213:214]
	v_add_f64_e32 v[0:1], v[2:3], v[0:1]
	v_fma_f64 v[2:3], v[138:139], s[34:35], v[118:119]
	v_add_f64_e32 v[4:5], v[4:5], v[6:7]
	v_mul_f64_e32 v[6:7], s[16:17], v[108:109]
	v_add_f64_e32 v[8:9], v[182:183], v[8:9]
	v_add_f64_e32 v[62:63], v[16:17], v[0:1]
	v_mul_f64_e32 v[16:17], s[16:17], v[92:93]
	v_add_f64_e32 v[2:3], v[2:3], v[4:5]
	v_fma_f64 v[4:5], v[148:149], s[16:17], v[122:123]
	v_add_f64_e32 v[6:7], v[206:207], v[6:7]
	v_add_f64_e32 v[8:9], v[8:9], v[64:65]
	v_mul_f64_e32 v[0:1], s[28:29], v[144:145]
	v_add_f64_e64 v[16:17], v[16:17], -v[217:218]
	v_add_f64_e32 v[60:61], v[4:5], v[2:3]
	v_mul_f64_e32 v[4:5], s[20:21], v[120:121]
	v_mul_f64_e32 v[2:3], s[24:25], v[132:133]
	v_add_f64_e32 v[6:7], v[6:7], v[8:9]
	v_add_f64_e32 v[0:1], v[219:220], v[0:1]
	v_add_f64_e32 v[8:9], v[16:17], v[14:15]
	v_mul_f64_e32 v[14:15], s[30:31], v[152:153]
	v_add_f64_e32 v[4:5], v[211:212], v[4:5]
	v_add_f64_e32 v[2:3], v[215:216], v[2:3]
	s_delay_alu instid0(VALU_DEP_3) | instskip(NEXT) | instid1(VALU_DEP_3)
	v_add_f64_e32 v[14:15], v[227:228], v[14:15]
	v_add_f64_e32 v[4:5], v[4:5], v[6:7]
	;; [unrolled: 1-line block ×3, first 2 shown]
	v_mul_f64_e32 v[8:9], s[30:31], v[138:139]
	s_delay_alu instid0(VALU_DEP_3) | instskip(NEXT) | instid1(VALU_DEP_3)
	v_add_f64_e32 v[2:3], v[2:3], v[4:5]
	v_add_f64_e32 v[4:5], v[12:13], v[6:7]
	v_mul_f64_e32 v[6:7], s[34:35], v[164:165]
	s_delay_alu instid0(VALU_DEP_4) | instskip(NEXT) | instid1(VALU_DEP_4)
	v_add_f64_e64 v[8:9], v[8:9], -v[221:222]
	v_add_f64_e32 v[0:1], v[0:1], v[2:3]
	s_delay_alu instid0(VALU_DEP_4) | instskip(SKIP_2) | instid1(VALU_DEP_4)
	v_add_f64_e32 v[2:3], v[10:11], v[4:5]
	v_mul_f64_e32 v[4:5], s[34:35], v[148:149]
	v_add_f64_e32 v[6:7], v[229:230], v[6:7]
	v_add_f64_e32 v[0:1], v[14:15], v[0:1]
	s_delay_alu instid0(VALU_DEP_4) | instskip(NEXT) | instid1(VALU_DEP_4)
	v_add_f64_e32 v[2:3], v[8:9], v[2:3]
	v_add_f64_e64 v[4:5], v[4:5], -v[225:226]
	s_delay_alu instid0(VALU_DEP_3) | instskip(SKIP_1) | instid1(VALU_DEP_3)
	v_add_f64_e32 v[66:67], v[6:7], v[0:1]
	v_mul_lo_u16 v0, v210, 17
	v_add_f64_e32 v[64:65], v[4:5], v[2:3]
	s_delay_alu instid0(VALU_DEP_2) | instskip(NEXT) | instid1(VALU_DEP_1)
	v_and_b32_e32 v0, 0xffff, v0
	v_lshlrev_b32_e32 v0, 4, v0
	ds_store_b128 v0, v[36:39] offset:32
	ds_store_b128 v0, v[40:43] offset:48
	;; [unrolled: 1-line block ×7, first 2 shown]
	scratch_load_b128 v[1:4], off, off offset:72 ; 16-byte Folded Reload
	s_wait_loadcnt 0x0
	ds_store_b128 v0, v[1:4] offset:192
	scratch_load_b128 v[1:4], off, off offset:56 ; 16-byte Folded Reload
	s_wait_loadcnt 0x0
	ds_store_b128 v0, v[1:4] offset:208
	scratch_load_b128 v[1:4], off, off offset:40 ; 16-byte Folded Reload
	s_wait_loadcnt 0x0
	ds_store_b128 v0, v[1:4] offset:224
	scratch_load_b128 v[1:4], off, off offset:24 ; 16-byte Folded Reload
	s_wait_loadcnt 0x0
	ds_store_b128 v0, v[1:4] offset:240
	ds_store_b128 v0, v[20:23] offset:144
	ds_store_b128 v0, v[32:35] offset:160
	;; [unrolled: 1-line block ×4, first 2 shown]
	ds_store_b128 v0, v[24:27]
	scratch_load_b128 v[1:4], off, off offset:8 ; 16-byte Folded Reload
	s_wait_loadcnt 0x0
	ds_store_b128 v0, v[1:4] offset:256
.LBB0_7:
	s_or_b32 exec_lo, exec_lo, s33
	v_add_co_u32 v52, null, 0x99, v210
	v_add_nc_u32_e32 v84, 0x132, v210
	v_and_b32_e32 v25, 0xff, v210
	v_add_nc_u32_e32 v85, 0x1cb, v210
	s_delay_alu instid0(VALU_DEP_4)
	v_and_b32_e32 v24, 0xffff, v52
	s_load_b128 s[0:3], s[2:3], 0x0
	v_and_b32_e32 v86, 0xffff, v84
	v_mul_lo_u16 v1, 0xf1, v25
	v_and_b32_e32 v87, 0xffff, v85
	v_mul_u32_u24_e32 v0, 0xf0f1, v24
	global_wb scope:SCOPE_SE
	s_wait_dscnt 0x0
	v_mul_u32_u24_e32 v2, 0xf0f1, v86
	v_lshrrev_b16 v60, 12, v1
	s_wait_kmcnt 0x0
	s_barrier_signal -1
	v_lshrrev_b32_e32 v53, 20, v0
	v_mul_u32_u24_e32 v0, 0xf0f1, v87
	v_lshrrev_b32_e32 v54, 20, v2
	v_mul_lo_u16 v2, v60, 17
	s_barrier_wait -1
	v_mul_lo_u16 v1, v53, 17
	v_lshrrev_b32_e32 v55, 20, v0
	v_mul_lo_u16 v0, v54, 17
	global_inv scope:SCOPE_SE
	v_mul_u32_u24_e32 v24, 0xa0a1, v24
	v_sub_nc_u16 v56, v52, v1
	v_sub_nc_u16 v1, v210, v2
	v_mul_lo_u16 v2, v55, 17
	v_sub_nc_u16 v57, v84, v0
	s_mov_b32 s6, 0xe8584caa
	v_lshlrev_b16 v0, 1, v56
	v_and_b32_e32 v59, 0xff, v1
	v_sub_nc_u16 v58, v85, v2
	v_lshlrev_b16 v1, 1, v57
	s_mov_b32 s7, 0x3febb67a
	v_and_b32_e32 v0, 0xffff, v0
	v_lshlrev_b32_e32 v2, 5, v59
	v_lshlrev_b16 v3, 1, v58
	v_and_b32_e32 v1, 0xffff, v1
	s_mov_b32 s11, 0xbfebb67a
	v_lshlrev_b32_e32 v0, 4, v0
	s_clause 0x1
	global_load_b128 v[42:45], v2, s[4:5]
	global_load_b128 v[30:33], v2, s[4:5] offset:16
	v_and_b32_e32 v2, 0xffff, v3
	v_lshlrev_b32_e32 v1, 4, v1
	s_wait_alu 0xfffe
	s_mov_b32 s10, s6
	s_clause 0x1
	global_load_b128 v[106:109], v0, s[4:5]
	global_load_b128 v[34:37], v0, s[4:5] offset:16
	v_mul_lo_u16 v25, 0xa1, v25
	v_lshlrev_b32_e32 v0, 4, v2
	s_clause 0x3
	global_load_b128 v[38:41], v1, s[4:5]
	global_load_b128 v[26:29], v1, s[4:5] offset:16
	global_load_b128 v[48:51], v0, s[4:5]
	global_load_b128 v[110:113], v0, s[4:5] offset:16
	v_and_b32_e32 v0, 0xffff, v210
	v_lshlrev_b32_e32 v218, 4, v210
	s_delay_alu instid0(VALU_DEP_2)
	v_lshlrev_b32_e32 v217, 4, v0
	ds_load_b128 v[61:64], v217 offset:9792
	ds_load_b128 v[65:68], v217 offset:19584
	;; [unrolled: 1-line block ×8, first 2 shown]
	s_wait_loadcnt_dscnt 0x707
	v_mul_f64_e32 v[0:1], v[63:64], v[44:45]
	v_mul_f64_e32 v[2:3], v[61:62], v[44:45]
	s_wait_loadcnt_dscnt 0x606
	v_mul_f64_e32 v[4:5], v[67:68], v[32:33]
	v_mul_f64_e32 v[6:7], v[65:66], v[32:33]
	;; [unrolled: 3-line block ×8, first 2 shown]
	s_clause 0x6
	scratch_store_b128 off, v[42:45], off offset:152
	scratch_store_b128 off, v[106:109], off offset:168
	;; [unrolled: 1-line block ×7, first 2 shown]
	v_mul_u32_u24_e32 v29, 0x358b, v87
	s_delay_alu instid0(VALU_DEP_1) | instskip(NEXT) | instid1(VALU_DEP_1)
	v_lshrrev_b32_e32 v29, 21, v29
	v_mul_lo_u16 v29, 0x99, v29
	v_fma_f64 v[0:1], v[61:62], v[42:43], -v[0:1]
	v_fma_f64 v[2:3], v[63:64], v[42:43], v[2:3]
	v_fma_f64 v[4:5], v[65:66], v[30:31], -v[4:5]
	v_fma_f64 v[6:7], v[67:68], v[30:31], v[6:7]
	;; [unrolled: 2-line block ×8, first 2 shown]
	ds_load_b128 v[61:64], v217
	ds_load_b128 v[65:68], v217 offset:2448
	ds_load_b128 v[69:72], v217 offset:4896
	ds_load_b128 v[73:76], v217 offset:7344
	v_lshrrev_b16 v88, 13, v25
	v_mul_u32_u24_e32 v25, 0xa0a1, v86
	v_mul_u32_u24_e32 v26, 0xa0a1, v87
	global_wb scope:SCOPE_SE
	s_wait_storecnt_dscnt 0x0
	s_barrier_signal -1
	v_mul_lo_u16 v27, v88, 51
	s_barrier_wait -1
	global_inv scope:SCOPE_SE
	v_and_b32_e32 v30, 0xffff, v88
	v_add_f64_e32 v[107:108], v[61:62], v[0:1]
	v_add_f64_e32 v[89:90], v[0:1], v[4:5]
	;; [unrolled: 1-line block ×3, first 2 shown]
	v_add_f64_e64 v[109:110], v[2:3], -v[6:7]
	v_add_f64_e32 v[2:3], v[63:64], v[2:3]
	v_add_f64_e32 v[93:94], v[8:9], v[12:13]
	;; [unrolled: 1-line block ×12, first 2 shown]
	v_add_f64_e64 v[0:1], v[0:1], -v[4:5]
	v_add_f64_e64 v[10:11], v[10:11], -v[14:15]
	;; [unrolled: 1-line block ×7, first 2 shown]
	v_add_f64_e32 v[121:122], v[75:76], v[79:80]
	v_fma_f64 v[123:124], v[89:90], -0.5, v[61:62]
	v_fma_f64 v[125:126], v[91:92], -0.5, v[63:64]
	v_lshrrev_b32_e32 v89, 21, v24
	v_and_b32_e32 v24, 0xffff, v60
	v_fma_f64 v[127:128], v[93:94], -0.5, v[65:66]
	v_fma_f64 v[129:130], v[97:98], -0.5, v[67:68]
	v_add_f64_e32 v[60:61], v[107:108], v[4:5]
	v_add_f64_e32 v[62:63], v[2:3], v[6:7]
	v_fma_f64 v[131:132], v[99:100], -0.5, v[69:70]
	v_fma_f64 v[133:134], v[101:102], -0.5, v[71:72]
	v_add_f64_e32 v[64:65], v[111:112], v[12:13]
	v_add_f64_e32 v[68:69], v[115:116], v[20:21]
	;; [unrolled: 4-line block ×3, first 2 shown]
	v_add_f64_e32 v[66:67], v[113:114], v[14:15]
	v_lshrrev_b32_e32 v90, 21, v25
	v_lshrrev_b32_e32 v91, 21, v26
	v_mul_lo_u16 v26, v89, 51
	v_sub_nc_u16 v25, v210, v27
	v_mad_u16 v2, v55, 51, v58
	v_add_f64_e32 v[74:75], v[121:122], v[95:96]
	v_mul_lo_u16 v27, v90, 51
	v_sub_nc_u16 v93, v52, v26
	v_mul_lo_u16 v28, v91, 51
	v_mul_u32_u24_e32 v24, 51, v24
	v_and_b32_e32 v2, 0xffff, v2
	v_sub_nc_u16 v94, v84, v27
	v_lshlrev_b16 v4, 5, v93
	v_sub_nc_u16 v95, v85, v28
	v_and_b32_e32 v92, 0xff, v25
	v_lshlrev_b32_e32 v2, 4, v2
	v_lshlrev_b16 v5, 5, v94
	v_and_b32_e32 v4, 0xffff, v4
	v_lshlrev_b16 v6, 5, v95
	v_lshlrev_b32_e32 v3, 5, v92
	v_add_nc_u32_e32 v25, 0x2fd, v210
	v_fma_f64 v[76:77], v[109:110], s[6:7], v[123:124]
	s_wait_alu 0xfffe
	v_fma_f64 v[80:81], v[109:110], s[10:11], v[123:124]
	v_fma_f64 v[82:83], v[0:1], s[6:7], v[125:126]
	;; [unrolled: 1-line block ×15, first 2 shown]
	v_mad_u16 v0, v53, 51, v56
	v_mad_u16 v1, v54, 51, v57
	v_add_lshl_u32 v9, v24, v59, 4
	v_and_b32_e32 v5, 0xffff, v5
	v_and_b32_e32 v6, 0xffff, v6
	;; [unrolled: 1-line block ×4, first 2 shown]
	v_add_nc_u32_e32 v24, 0x264, v210
	v_and_b32_e32 v27, 0xffff, v25
	v_mul_u32_u24_e32 v28, 0x358b, v86
	v_lshlrev_b32_e32 v8, 4, v0
	v_lshlrev_b32_e32 v7, 4, v1
	v_add_co_u32 v0, s14, s4, v4
	s_wait_alu 0xf1ff
	v_add_co_ci_u32_e64 v1, null, s5, 0, s14
	v_and_b32_e32 v26, 0xffff, v24
	v_mul_u32_u24_e32 v27, 0x358b, v27
	v_lshrrev_b32_e32 v28, 21, v28
	ds_store_b128 v9, v[60:63]
	ds_store_b128 v9, v[76:79] offset:272
	scratch_store_b32 off, v9, off offset:256 ; 4-byte Folded Spill
	ds_store_b128 v9, v[80:83] offset:544
	ds_store_b128 v8, v[64:67]
	ds_store_b128 v8, v[96:99] offset:272
	scratch_store_b32 off, v8, off offset:248 ; 4-byte Folded Spill
	ds_store_b128 v8, v[100:103] offset:544
	;; [unrolled: 4-line block ×4, first 2 shown]
	v_add_co_u32 v2, s14, s4, v5
	global_wb scope:SCOPE_SE
	s_wait_storecnt_dscnt 0x0
	s_barrier_signal -1
	s_barrier_wait -1
	global_inv scope:SCOPE_SE
	s_clause 0x1
	global_load_b128 v[52:55], v3, s[4:5] offset:560
	global_load_b128 v[68:71], v3, s[4:5] offset:544
	s_wait_alu 0xf1ff
	v_add_co_ci_u32_e64 v3, null, s5, 0, s14
	s_clause 0x1
	global_load_b128 v[56:59], v[0:1], off offset:560
	global_load_b128 v[72:75], v[0:1], off offset:544
	v_add_co_u32 v0, s14, s4, v6
	s_wait_alu 0xf1ff
	v_add_co_ci_u32_e64 v1, null, s5, 0, s14
	s_clause 0x3
	global_load_b128 v[64:67], v[2:3], off offset:544
	global_load_b128 v[60:63], v[2:3], off offset:560
	global_load_b128 v[80:83], v[0:1], off offset:544
	global_load_b128 v[76:79], v[0:1], off offset:560
	ds_load_b128 v[96:99], v217 offset:9792
	ds_load_b128 v[100:103], v217 offset:19584
	;; [unrolled: 1-line block ×8, first 2 shown]
	v_mul_u32_u24_e32 v26, 0x358b, v26
	v_lshrrev_b32_e32 v27, 21, v27
	v_mul_lo_u16 v28, 0x99, v28
	s_delay_alu instid0(VALU_DEP_3)
	v_lshrrev_b32_e32 v26, 21, v26
	s_wait_loadcnt_dscnt 0x706
	v_mul_f64_e32 v[4:5], v[102:103], v[54:55]
	s_wait_loadcnt 0x6
	v_mul_f64_e32 v[0:1], v[98:99], v[70:71]
	v_mul_f64_e32 v[2:3], v[96:97], v[70:71]
	;; [unrolled: 1-line block ×3, first 2 shown]
	s_wait_loadcnt_dscnt 0x405
	v_mul_f64_e32 v[8:9], v[106:107], v[74:75]
	v_mul_f64_e32 v[10:11], v[104:105], v[74:75]
	s_wait_dscnt 0x4
	v_mul_f64_e32 v[12:13], v[110:111], v[58:59]
	v_mul_f64_e32 v[14:15], v[108:109], v[58:59]
	s_wait_loadcnt_dscnt 0x303
	v_mul_f64_e32 v[16:17], v[114:115], v[66:67]
	v_mul_f64_e32 v[18:19], v[112:113], v[66:67]
	s_wait_loadcnt_dscnt 0x202
	;; [unrolled: 3-line block ×4, first 2 shown]
	v_mul_f64_e32 v[132:133], v[126:127], v[78:79]
	v_mul_f64_e32 v[134:135], v[124:125], v[78:79]
	v_fma_f64 v[4:5], v[100:101], v[52:53], -v[4:5]
	v_fma_f64 v[0:1], v[96:97], v[68:69], -v[0:1]
	v_fma_f64 v[2:3], v[98:99], v[68:69], v[2:3]
	v_fma_f64 v[6:7], v[102:103], v[52:53], v[6:7]
	v_fma_f64 v[8:9], v[104:105], v[72:73], -v[8:9]
	v_fma_f64 v[10:11], v[106:107], v[72:73], v[10:11]
	v_fma_f64 v[12:13], v[108:109], v[56:57], -v[12:13]
	v_fma_f64 v[14:15], v[110:111], v[56:57], v[14:15]
	v_fma_f64 v[16:17], v[112:113], v[64:65], -v[16:17]
	v_fma_f64 v[18:19], v[114:115], v[64:65], v[18:19]
	v_fma_f64 v[20:21], v[116:117], v[60:61], -v[20:21]
	v_fma_f64 v[22:23], v[118:119], v[60:61], v[22:23]
	v_fma_f64 v[112:113], v[120:121], v[80:81], -v[128:129]
	v_fma_f64 v[114:115], v[122:123], v[80:81], v[130:131]
	v_fma_f64 v[116:117], v[124:125], v[76:77], -v[132:133]
	v_fma_f64 v[118:119], v[126:127], v[76:77], v[134:135]
	ds_load_b128 v[96:99], v217
	ds_load_b128 v[100:103], v217 offset:2448
	ds_load_b128 v[104:107], v217 offset:4896
	;; [unrolled: 1-line block ×3, first 2 shown]
	global_wb scope:SCOPE_SE
	s_wait_dscnt 0x0
	s_barrier_signal -1
	s_barrier_wait -1
	global_inv scope:SCOPE_SE
	v_add_f64_e32 v[120:121], v[0:1], v[4:5]
	v_add_f64_e32 v[136:137], v[96:97], v[0:1]
	v_add_f64_e32 v[122:123], v[2:3], v[6:7]
	v_add_f64_e64 v[138:139], v[2:3], -v[6:7]
	v_add_f64_e32 v[2:3], v[98:99], v[2:3]
	v_add_f64_e32 v[124:125], v[8:9], v[12:13]
	;; [unrolled: 1-line block ×13, first 2 shown]
	v_add_f64_e64 v[0:1], v[0:1], -v[4:5]
	v_add_f64_e64 v[10:11], v[10:11], -v[14:15]
	;; [unrolled: 1-line block ×7, first 2 shown]
	v_fma_f64 v[120:121], v[120:121], -0.5, v[96:97]
	v_add_f64_e32 v[96:97], v[136:137], v[4:5]
	v_fma_f64 v[122:123], v[122:123], -0.5, v[98:99]
	v_mad_u16 v5, 0x99, v90, v94
	v_add_f64_e32 v[98:99], v[2:3], v[6:7]
	v_fma_f64 v[124:125], v[124:125], -0.5, v[100:101]
	v_fma_f64 v[126:127], v[126:127], -0.5, v[102:103]
	v_add_f64_e32 v[100:101], v[140:141], v[12:13]
	v_add_f64_e32 v[102:103], v[142:143], v[14:15]
	v_fma_f64 v[152:153], v[128:129], -0.5, v[104:105]
	v_fma_f64 v[154:155], v[130:131], -0.5, v[106:107]
	v_add_f64_e32 v[104:105], v[144:145], v[20:21]
	;; [unrolled: 4-line block ×3, first 2 shown]
	v_add_f64_e32 v[110:111], v[150:151], v[118:119]
	v_mul_u32_u24_e32 v2, 0x99, v30
	v_sub_nc_u16 v3, v84, v28
	v_mad_u16 v6, 0x99, v91, v95
	v_sub_nc_u16 v4, v85, v29
	v_and_b32_e32 v5, 0xffff, v5
	s_delay_alu instid0(VALU_DEP_4) | instskip(NEXT) | instid1(VALU_DEP_4)
	v_and_b32_e32 v3, 0xffff, v3
	v_and_b32_e32 v6, 0xffff, v6
	s_delay_alu instid0(VALU_DEP_4)
	v_and_b32_e32 v4, 0xffff, v4
	v_fma_f64 v[112:113], v[138:139], s[6:7], v[120:121]
	v_fma_f64 v[116:117], v[138:139], s[10:11], v[120:121]
	;; [unrolled: 1-line block ×4, first 2 shown]
	v_mul_lo_u16 v0, 0x99, v26
	v_fma_f64 v[120:121], v[10:11], s[6:7], v[124:125]
	v_fma_f64 v[124:125], v[10:11], s[10:11], v[124:125]
	;; [unrolled: 1-line block ×12, first 2 shown]
	v_mul_lo_u16 v1, 0x99, v27
	v_add_lshl_u32 v8, v2, v92, 4
	v_mad_u16 v2, 0x99, v89, v93
	v_sub_nc_u16 v0, v24, v0
	v_lshlrev_b32_e32 v27, 4, v4
	v_sub_nc_u16 v1, v25, v1
	v_lshlrev_b32_e32 v25, 4, v3
	v_and_b32_e32 v2, 0xffff, v2
	v_and_b32_e32 v0, 0xffff, v0
	v_lshlrev_b32_e32 v3, 4, v5
	v_and_b32_e32 v1, 0xffff, v1
	ds_store_b128 v8, v[96:99]
	ds_store_b128 v8, v[112:115] offset:816
	v_lshlrev_b32_e32 v7, 4, v2
	v_lshlrev_b32_e32 v2, 4, v6
	;; [unrolled: 1-line block ×4, first 2 shown]
	scratch_store_b32 off, v8, off offset:288 ; 4-byte Folded Spill
	ds_store_b128 v8, v[116:119] offset:1632
	ds_store_b128 v7, v[100:103]
	ds_store_b128 v7, v[120:123] offset:816
	scratch_store_b32 off, v7, off offset:280 ; 4-byte Folded Spill
	ds_store_b128 v7, v[124:127] offset:1632
	ds_store_b128 v3, v[104:107]
	ds_store_b128 v3, v[128:131] offset:816
	scratch_store_b32 off, v3, off offset:272 ; 4-byte Folded Spill
	ds_store_b128 v3, v[132:135] offset:1632
	ds_store_b128 v2, v[108:111]
	ds_store_b128 v2, v[136:139] offset:816
	scratch_store_b32 off, v2, off offset:264 ; 4-byte Folded Spill
	ds_store_b128 v2, v[140:143] offset:1632
	global_wb scope:SCOPE_SE
	s_wait_storecnt_dscnt 0x0
	s_barrier_signal -1
	s_barrier_wait -1
	global_inv scope:SCOPE_SE
	s_clause 0x4
	global_load_b128 v[92:95], v218, s[4:5] offset:2176
	global_load_b128 v[100:103], v25, s[4:5] offset:2176
	;; [unrolled: 1-line block ×5, first 2 shown]
	ds_load_b128 v[88:91], v217 offset:14688
	ds_load_b128 v[108:111], v217 offset:17136
	;; [unrolled: 1-line block ×6, first 2 shown]
	s_wait_loadcnt_dscnt 0x202
	v_mul_f64_e32 v[12:13], v[118:119], v[106:107]
	v_mul_f64_e32 v[0:1], v[90:91], v[94:95]
	v_mul_f64_e32 v[2:3], v[88:89], v[94:95]
	v_mul_f64_e32 v[14:15], v[116:117], v[106:107]
	s_wait_loadcnt_dscnt 0x101
	v_mul_f64_e32 v[16:17], v[122:123], v[98:99]
	v_mul_f64_e32 v[18:19], v[120:121], v[98:99]
	s_wait_loadcnt_dscnt 0x0
	v_mul_f64_e32 v[20:21], v[126:127], v[86:87]
	v_mul_f64_e32 v[22:23], v[124:125], v[86:87]
	;; [unrolled: 1-line block ×6, first 2 shown]
	v_fma_f64 v[12:13], v[116:117], v[104:105], -v[12:13]
	v_fma_f64 v[0:1], v[88:89], v[92:93], -v[0:1]
	v_fma_f64 v[2:3], v[90:91], v[92:93], v[2:3]
	v_fma_f64 v[14:15], v[118:119], v[104:105], v[14:15]
	v_fma_f64 v[16:17], v[120:121], v[96:97], -v[16:17]
	v_fma_f64 v[18:19], v[122:123], v[96:97], v[18:19]
	v_fma_f64 v[20:21], v[124:125], v[84:85], -v[20:21]
	;; [unrolled: 2-line block ×4, first 2 shown]
	v_fma_f64 v[10:11], v[114:115], v[100:101], v[10:11]
	ds_load_b128 v[88:91], v217
	ds_load_b128 v[108:111], v217 offset:2448
	ds_load_b128 v[112:115], v217 offset:4896
	;; [unrolled: 1-line block ×5, first 2 shown]
	global_wb scope:SCOPE_SE
	s_wait_dscnt 0x0
	s_barrier_signal -1
	s_barrier_wait -1
	global_inv scope:SCOPE_SE
	v_add_f64_e64 v[140:141], v[116:117], -v[12:13]
	v_add_f64_e64 v[128:129], v[88:89], -v[0:1]
	;; [unrolled: 1-line block ×12, first 2 shown]
	v_mad_co_u64_u32 v[0:1], null, 0x50, v210, s[4:5]
	v_fma_f64 v[116:117], v[116:117], 2.0, -v[140:141]
	v_fma_f64 v[88:89], v[88:89], 2.0, -v[128:129]
	;; [unrolled: 1-line block ×12, first 2 shown]
	ds_store_b128 v217, v[88:91]
	ds_store_b128 v217, v[128:131] offset:2448
	ds_store_b128 v217, v[108:111] offset:4896
	;; [unrolled: 1-line block ×4, first 2 shown]
	scratch_store_b32 off, v25, off offset:208 ; 4-byte Folded Spill
	ds_store_b128 v25, v[136:139] offset:12240
	ds_store_b128 v27, v[116:119] offset:14688
	scratch_store_b32 off, v27, off offset:224 ; 4-byte Folded Spill
	ds_store_b128 v27, v[140:143] offset:17136
	ds_store_b128 v26, v[120:123] offset:19584
	;; [unrolled: 3-line block ×3, first 2 shown]
	scratch_store_b32 off, v24, off offset:200 ; 4-byte Folded Spill
	ds_store_b128 v24, v[148:151] offset:26928
	global_wb scope:SCOPE_SE
	s_wait_storecnt_dscnt 0x0
	s_barrier_signal -1
	s_barrier_wait -1
	global_inv scope:SCOPE_SE
	s_clause 0x9
	global_load_b128 v[108:111], v[0:1], off offset:4656
	global_load_b128 v[136:139], v[0:1], off offset:4688
	;; [unrolled: 1-line block ×10, first 2 shown]
	ds_load_b128 v[144:147], v217 offset:14688
	ds_load_b128 v[148:151], v217 offset:24480
	;; [unrolled: 1-line block ×6, first 2 shown]
	s_wait_loadcnt_dscnt 0x905
	v_mul_f64_e32 v[0:1], v[146:147], v[110:111]
	v_mul_f64_e32 v[2:3], v[144:145], v[110:111]
	s_wait_loadcnt_dscnt 0x804
	v_mul_f64_e32 v[4:5], v[148:149], v[138:139]
	v_mul_f64_e32 v[6:7], v[150:151], v[138:139]
	;; [unrolled: 3-line block ×6, first 2 shown]
	v_fma_f64 v[0:1], v[144:145], v[108:109], -v[0:1]
	v_fma_f64 v[2:3], v[146:147], v[108:109], v[2:3]
	v_fma_f64 v[4:5], v[150:151], v[136:137], v[4:5]
	v_fma_f64 v[6:7], v[148:149], v[136:137], -v[6:7]
	v_fma_f64 v[8:9], v[152:153], v[132:133], -v[8:9]
	v_fma_f64 v[10:11], v[154:155], v[132:133], v[10:11]
	v_fma_f64 v[12:13], v[158:159], v[140:141], v[12:13]
	v_fma_f64 v[14:15], v[156:157], v[140:141], -v[14:15]
	ds_load_b128 v[144:147], v217 offset:9792
	ds_load_b128 v[148:151], v217 offset:19584
	;; [unrolled: 1-line block ×4, first 2 shown]
	v_fma_f64 v[16:17], v[160:161], v[120:121], -v[16:17]
	v_fma_f64 v[18:19], v[162:163], v[120:121], v[18:19]
	v_fma_f64 v[20:21], v[164:165], v[88:89], -v[20:21]
	v_fma_f64 v[22:23], v[166:167], v[88:89], v[22:23]
	s_wait_loadcnt_dscnt 0x303
	v_mul_f64_e32 v[168:169], v[146:147], v[130:131]
	v_mul_f64_e32 v[170:171], v[144:145], v[130:131]
	s_wait_loadcnt_dscnt 0x202
	v_mul_f64_e32 v[172:173], v[150:151], v[126:127]
	v_mul_f64_e32 v[174:175], v[148:149], v[126:127]
	;; [unrolled: 3-line block ×4, first 2 shown]
	v_add_f64_e32 v[160:161], v[2:3], v[4:5]
	v_add_f64_e32 v[162:163], v[0:1], v[6:7]
	;; [unrolled: 1-line block ×4, first 2 shown]
	v_fma_f64 v[168:169], v[144:145], v[128:129], -v[168:169]
	v_fma_f64 v[170:171], v[146:147], v[128:129], v[170:171]
	v_fma_f64 v[172:173], v[148:149], v[124:125], -v[172:173]
	v_fma_f64 v[174:175], v[150:151], v[124:125], v[174:175]
	v_add_f64_e64 v[144:145], v[2:3], -v[4:5]
	v_add_f64_e64 v[146:147], v[0:1], -v[6:7]
	v_fma_f64 v[152:153], v[152:153], v[116:117], -v[176:177]
	v_fma_f64 v[154:155], v[154:155], v[116:117], v[178:179]
	v_fma_f64 v[156:157], v[156:157], v[112:113], -v[180:181]
	v_fma_f64 v[158:159], v[158:159], v[112:113], v[182:183]
	v_add_f64_e32 v[0:1], v[16:17], v[0:1]
	v_add_f64_e32 v[2:3], v[18:19], v[2:3]
	v_fma_f64 v[148:149], v[160:161], -0.5, v[18:19]
	v_fma_f64 v[150:151], v[162:163], -0.5, v[16:17]
	v_add_f64_e64 v[160:161], v[10:11], -v[12:13]
	v_add_f64_e64 v[162:163], v[8:9], -v[14:15]
	v_fma_f64 v[164:165], v[164:165], -0.5, v[22:23]
	v_fma_f64 v[166:167], v[166:167], -0.5, v[20:21]
	v_add_f64_e32 v[8:9], v[20:21], v[8:9]
	v_add_f64_e32 v[10:11], v[22:23], v[10:11]
	;; [unrolled: 1-line block ×4, first 2 shown]
	v_add_f64_e64 v[22:23], v[168:169], -v[172:173]
	v_add_f64_e32 v[188:189], v[152:153], v[156:157]
	v_add_f64_e32 v[190:191], v[154:155], v[158:159]
	;; [unrolled: 1-line block ×4, first 2 shown]
	v_fma_f64 v[180:181], v[146:147], s[10:11], v[148:149]
	v_fma_f64 v[182:183], v[144:145], s[10:11], v[150:151]
	;; [unrolled: 1-line block ×8, first 2 shown]
	ds_load_b128 v[144:147], v217
	ds_load_b128 v[148:151], v217 offset:2448
	v_add_f64_e64 v[166:167], v[170:171], -v[174:175]
	v_add_f64_e32 v[8:9], v[8:9], v[14:15]
	v_add_f64_e32 v[10:11], v[10:11], v[12:13]
	s_wait_dscnt 0x1
	v_add_f64_e32 v[164:165], v[144:145], v[168:169]
	v_add_f64_e32 v[170:171], v[146:147], v[170:171]
	s_wait_dscnt 0x0
	v_add_f64_e32 v[16:17], v[148:149], v[152:153]
	v_add_f64_e32 v[18:19], v[150:151], v[154:155]
	v_fma_f64 v[20:21], v[176:177], -0.5, v[144:145]
	v_fma_f64 v[144:145], v[178:179], -0.5, v[146:147]
	v_add_f64_e64 v[146:147], v[154:155], -v[158:159]
	v_fma_f64 v[148:149], v[188:189], -0.5, v[148:149]
	v_add_f64_e64 v[152:153], v[152:153], -v[156:157]
	v_fma_f64 v[150:151], v[190:191], -0.5, v[150:151]
	v_mul_f64_e32 v[154:155], s[6:7], v[180:181]
	v_mul_f64_e32 v[168:169], -0.5, v[182:183]
	v_mul_f64_e32 v[176:177], s[10:11], v[184:185]
	v_mul_f64_e32 v[178:179], -0.5, v[186:187]
	v_mul_f64_e32 v[188:189], s[6:7], v[192:193]
	v_mul_f64_e32 v[190:191], s[10:11], v[194:195]
	v_mul_f64_e32 v[196:197], -0.5, v[160:161]
	v_mul_f64_e32 v[198:199], -0.5, v[162:163]
	v_add_f64_e32 v[164:165], v[164:165], v[172:173]
	v_add_f64_e32 v[170:171], v[170:171], v[174:175]
	;; [unrolled: 1-line block ×4, first 2 shown]
	v_fma_f64 v[12:13], v[166:167], s[6:7], v[20:21]
	v_fma_f64 v[14:15], v[166:167], s[10:11], v[20:21]
	;; [unrolled: 1-line block ×6, first 2 shown]
	v_fma_f64 v[20:21], v[184:185], 0.5, v[154:155]
	v_fma_f64 v[22:23], v[186:187], s[6:7], v[168:169]
	v_fma_f64 v[166:167], v[180:181], 0.5, v[176:177]
	v_fma_f64 v[172:173], v[182:183], s[10:11], v[178:179]
	v_fma_f64 v[178:179], v[152:153], s[10:11], v[150:151]
	;; [unrolled: 1-line block ×3, first 2 shown]
	v_fma_f64 v[176:177], v[194:195], 0.5, v[188:189]
	v_fma_f64 v[192:193], v[192:193], 0.5, v[190:191]
	v_fma_f64 v[194:195], v[162:163], s[6:7], v[196:197]
	v_fma_f64 v[196:197], v[160:161], s[10:11], v[198:199]
	v_add_f64_e32 v[144:145], v[164:165], v[0:1]
	v_add_f64_e32 v[146:147], v[170:171], v[2:3]
	v_add_f64_e64 v[156:157], v[164:165], -v[0:1]
	v_add_f64_e64 v[158:159], v[170:171], -v[2:3]
	v_add_f64_e32 v[168:169], v[4:5], v[8:9]
	v_add_f64_e32 v[170:171], v[6:7], v[10:11]
	v_add_f64_e64 v[184:185], v[4:5], -v[8:9]
	v_add_f64_e64 v[186:187], v[6:7], -v[10:11]
	v_add_f64_e32 v[148:149], v[12:13], v[20:21]
	v_add_f64_e32 v[152:153], v[14:15], v[22:23]
	;; [unrolled: 1-line block ×4, first 2 shown]
	v_add_f64_e64 v[160:161], v[12:13], -v[20:21]
	v_add_f64_e64 v[164:165], v[14:15], -v[22:23]
	;; [unrolled: 1-line block ×4, first 2 shown]
	v_add_f64_e32 v[180:181], v[174:175], v[176:177]
	v_add_f64_e32 v[182:183], v[178:179], v[192:193]
	;; [unrolled: 1-line block ×4, first 2 shown]
	v_add_f64_e64 v[176:177], v[174:175], -v[176:177]
	v_add_f64_e64 v[178:179], v[178:179], -v[192:193]
	;; [unrolled: 1-line block ×4, first 2 shown]
	ds_store_b128 v217, v[144:147]
	ds_store_b128 v217, v[168:171] offset:2448
	ds_store_b128 v217, v[156:159] offset:14688
	;; [unrolled: 1-line block ×11, first 2 shown]
	global_wb scope:SCOPE_SE
	s_wait_dscnt 0x0
	s_barrier_signal -1
	s_barrier_wait -1
	global_inv scope:SCOPE_SE
	s_and_saveexec_b32 s6, vcc_lo
	s_cbranch_execz .LBB0_9
; %bb.8:
	global_load_b128 v[200:203], v255, s[8:9] offset:29376
	s_add_nc_u64 s[4:5], s[8:9], 0x72c0
	s_clause 0x4
	global_load_b128 v[192:195], v255, s[4:5] offset:1728
	global_load_b128 v[196:199], v255, s[4:5] offset:3456
	;; [unrolled: 1-line block ×5, first 2 shown]
	ds_load_b128 v[235:238], v217
	s_wait_loadcnt_dscnt 0x500
	v_mul_f64_e32 v[0:1], v[237:238], v[202:203]
	v_mul_f64_e32 v[2:3], v[235:236], v[202:203]
	s_delay_alu instid0(VALU_DEP_2) | instskip(NEXT) | instid1(VALU_DEP_2)
	v_fma_f64 v[235:236], v[235:236], v[200:201], -v[0:1]
	v_fma_f64 v[237:238], v[237:238], v[200:201], v[2:3]
	ds_store_b128 v217, v[235:238]
	ds_load_b128 v[200:203], v218 offset:1728
	ds_load_b128 v[235:238], v218 offset:3456
	s_wait_loadcnt_dscnt 0x401
	v_mul_f64_e32 v[0:1], v[202:203], v[194:195]
	v_mul_f64_e32 v[2:3], v[200:201], v[194:195]
	s_wait_loadcnt_dscnt 0x300
	v_mul_f64_e32 v[4:5], v[237:238], v[198:199]
	v_mul_f64_e32 v[6:7], v[235:236], v[198:199]
	s_delay_alu instid0(VALU_DEP_4) | instskip(NEXT) | instid1(VALU_DEP_4)
	v_fma_f64 v[198:199], v[200:201], v[192:193], -v[0:1]
	v_fma_f64 v[200:201], v[202:203], v[192:193], v[2:3]
	ds_load_b128 v[192:195], v218 offset:5184
	ds_load_b128 v[239:242], v218 offset:6912
	v_fma_f64 v[235:236], v[235:236], v[196:197], -v[4:5]
	v_fma_f64 v[237:238], v[237:238], v[196:197], v[6:7]
	s_wait_loadcnt_dscnt 0x201
	v_mul_f64_e32 v[0:1], v[194:195], v[206:207]
	v_mul_f64_e32 v[2:3], v[192:193], v[206:207]
	s_wait_loadcnt_dscnt 0x100
	v_mul_f64_e32 v[4:5], v[241:242], v[213:214]
	v_mul_f64_e32 v[6:7], v[239:240], v[213:214]
	ds_load_b128 v[206:209], v218 offset:8640
	v_fma_f64 v[192:193], v[192:193], v[204:205], -v[0:1]
	v_fma_f64 v[194:195], v[194:195], v[204:205], v[2:3]
	global_load_b128 v[202:205], v255, s[4:5] offset:10368
	v_fma_f64 v[213:214], v[239:240], v[211:212], -v[4:5]
	v_fma_f64 v[215:216], v[241:242], v[211:212], v[6:7]
	ds_load_b128 v[239:242], v218 offset:10368
	s_wait_loadcnt_dscnt 0x101
	v_mul_f64_e32 v[0:1], v[208:209], v[233:234]
	v_mul_f64_e32 v[2:3], v[206:207], v[233:234]
	s_delay_alu instid0(VALU_DEP_2) | instskip(NEXT) | instid1(VALU_DEP_2)
	v_fma_f64 v[206:207], v[206:207], v[231:232], -v[0:1]
	v_fma_f64 v[208:209], v[208:209], v[231:232], v[2:3]
	global_load_b128 v[231:234], v255, s[4:5] offset:12096
	s_wait_loadcnt_dscnt 0x100
	v_mul_f64_e32 v[0:1], v[241:242], v[204:205]
	v_mul_f64_e32 v[2:3], v[239:240], v[204:205]
	s_delay_alu instid0(VALU_DEP_2) | instskip(NEXT) | instid1(VALU_DEP_2)
	v_fma_f64 v[239:240], v[239:240], v[202:203], -v[0:1]
	v_fma_f64 v[241:242], v[241:242], v[202:203], v[2:3]
	ds_load_b128 v[202:205], v218 offset:12096
	ds_load_b128 v[243:246], v218 offset:13824
	s_wait_loadcnt_dscnt 0x1
	v_mul_f64_e32 v[0:1], v[204:205], v[233:234]
	v_mul_f64_e32 v[2:3], v[202:203], v[233:234]
	s_delay_alu instid0(VALU_DEP_2) | instskip(NEXT) | instid1(VALU_DEP_2)
	v_fma_f64 v[202:203], v[202:203], v[231:232], -v[0:1]
	v_fma_f64 v[204:205], v[204:205], v[231:232], v[2:3]
	s_clause 0x1
	global_load_b128 v[231:234], v255, s[4:5] offset:13824
	global_load_b128 v[247:250], v255, s[4:5] offset:15552
	s_wait_loadcnt_dscnt 0x100
	v_mul_f64_e32 v[0:1], v[245:246], v[233:234]
	v_mul_f64_e32 v[2:3], v[243:244], v[233:234]
	s_delay_alu instid0(VALU_DEP_2) | instskip(NEXT) | instid1(VALU_DEP_2)
	v_fma_f64 v[243:244], v[243:244], v[231:232], -v[0:1]
	v_fma_f64 v[245:246], v[245:246], v[231:232], v[2:3]
	ds_load_b128 v[231:234], v218 offset:15552
	ds_load_b128 v[251:254], v218 offset:17280
	s_wait_loadcnt_dscnt 0x1
	v_mul_f64_e32 v[0:1], v[233:234], v[249:250]
	v_mul_f64_e32 v[2:3], v[231:232], v[249:250]
	s_delay_alu instid0(VALU_DEP_2) | instskip(NEXT) | instid1(VALU_DEP_2)
	v_fma_f64 v[231:232], v[231:232], v[247:248], -v[0:1]
	v_fma_f64 v[233:234], v[233:234], v[247:248], v[2:3]
	s_clause 0x1
	global_load_b128 v[247:250], v255, s[4:5] offset:17280
	global_load_b128 v[219:222], v255, s[4:5] offset:19008
	ds_load_b128 v[223:226], v218 offset:19008
	ds_load_b128 v[227:230], v218 offset:20736
	s_wait_loadcnt_dscnt 0x102
	v_mul_f64_e32 v[0:1], v[253:254], v[249:250]
	v_mul_f64_e32 v[2:3], v[251:252], v[249:250]
	s_delay_alu instid0(VALU_DEP_2) | instskip(NEXT) | instid1(VALU_DEP_2)
	v_fma_f64 v[249:250], v[251:252], v[247:248], -v[0:1]
	v_fma_f64 v[251:252], v[253:254], v[247:248], v[2:3]
	s_wait_loadcnt_dscnt 0x1
	v_mul_f64_e32 v[0:1], v[225:226], v[221:222]
	v_mul_f64_e32 v[2:3], v[223:224], v[221:222]
	s_delay_alu instid0(VALU_DEP_2) | instskip(NEXT) | instid1(VALU_DEP_2)
	v_fma_f64 v[221:222], v[223:224], v[219:220], -v[0:1]
	v_fma_f64 v[223:224], v[225:226], v[219:220], v[2:3]
	s_clause 0x1
	global_load_b128 v[0:3], v255, s[4:5] offset:20736
	global_load_b128 v[4:7], v255, s[4:5] offset:22464
	s_wait_loadcnt_dscnt 0x100
	v_mul_f64_e32 v[8:9], v[229:230], v[2:3]
	v_mul_f64_e32 v[2:3], v[227:228], v[2:3]
	s_delay_alu instid0(VALU_DEP_2) | instskip(NEXT) | instid1(VALU_DEP_2)
	v_fma_f64 v[225:226], v[227:228], v[0:1], -v[8:9]
	v_fma_f64 v[227:228], v[229:230], v[0:1], v[2:3]
	ds_load_b128 v[0:3], v218 offset:22464
	ds_load_b128 v[8:11], v218 offset:24192
	s_wait_loadcnt_dscnt 0x1
	v_mul_f64_e32 v[12:13], v[2:3], v[6:7]
	v_mul_f64_e32 v[6:7], v[0:1], v[6:7]
	s_delay_alu instid0(VALU_DEP_2) | instskip(NEXT) | instid1(VALU_DEP_2)
	v_fma_f64 v[0:1], v[0:1], v[4:5], -v[12:13]
	v_fma_f64 v[2:3], v[2:3], v[4:5], v[6:7]
	s_clause 0x1
	global_load_b128 v[4:7], v255, s[4:5] offset:24192
	global_load_b128 v[12:15], v255, s[4:5] offset:25920
	s_wait_loadcnt_dscnt 0x100
	v_mul_f64_e32 v[16:17], v[10:11], v[6:7]
	v_mul_f64_e32 v[18:19], v[8:9], v[6:7]
	s_delay_alu instid0(VALU_DEP_2) | instskip(NEXT) | instid1(VALU_DEP_2)
	v_fma_f64 v[6:7], v[8:9], v[4:5], -v[16:17]
	v_fma_f64 v[8:9], v[10:11], v[4:5], v[18:19]
	ds_load_b128 v[16:19], v218 offset:25920
	ds_load_b128 v[20:23], v218 offset:27648
	s_wait_loadcnt_dscnt 0x1
	v_mul_f64_e32 v[4:5], v[18:19], v[14:15]
	v_mul_f64_e32 v[14:15], v[16:17], v[14:15]
	s_delay_alu instid0(VALU_DEP_2) | instskip(NEXT) | instid1(VALU_DEP_2)
	v_fma_f64 v[10:11], v[16:17], v[12:13], -v[4:5]
	v_fma_f64 v[12:13], v[18:19], v[12:13], v[14:15]
	global_load_b128 v[14:17], v255, s[4:5] offset:27648
	s_wait_loadcnt_dscnt 0x0
	v_mul_f64_e32 v[4:5], v[22:23], v[16:17]
	v_mul_f64_e32 v[18:19], v[20:21], v[16:17]
	s_delay_alu instid0(VALU_DEP_2) | instskip(NEXT) | instid1(VALU_DEP_2)
	v_fma_f64 v[16:17], v[20:21], v[14:15], -v[4:5]
	v_fma_f64 v[18:19], v[22:23], v[14:15], v[18:19]
	ds_store_b128 v218, v[198:201] offset:1728
	ds_store_b128 v218, v[235:238] offset:3456
	;; [unrolled: 1-line block ×16, first 2 shown]
.LBB0_9:
	s_wait_alu 0xfffe
	s_or_b32 exec_lo, exec_lo, s6
	global_wb scope:SCOPE_SE
	s_wait_dscnt 0x0
	s_barrier_signal -1
	s_barrier_wait -1
	global_inv scope:SCOPE_SE
	s_and_saveexec_b32 s4, vcc_lo
	s_cbranch_execz .LBB0_11
; %bb.10:
	ds_load_b128 v[144:147], v217
	ds_load_b128 v[148:151], v217 offset:1728
	ds_load_b128 v[152:155], v217 offset:3456
	;; [unrolled: 1-line block ×12, first 2 shown]
	s_wait_dscnt 0x0
	scratch_store_b128 off, v[0:3], off offset:72 ; 16-byte Folded Spill
	ds_load_b128 v[0:3], v217 offset:22464
	s_wait_dscnt 0x0
	scratch_store_b128 off, v[0:3], off offset:56 ; 16-byte Folded Spill
	ds_load_b128 v[0:3], v217 offset:24192
	;; [unrolled: 3-line block ×4, first 2 shown]
	s_wait_dscnt 0x0
	scratch_store_b128 off, v[0:3], off offset:8 ; 16-byte Folded Spill
.LBB0_11:
	s_wait_alu 0xfffe
	s_or_b32 exec_lo, exec_lo, s4
	global_wb scope:SCOPE_SE
	s_wait_storecnt 0x0
	s_barrier_signal -1
	s_barrier_wait -1
	global_inv scope:SCOPE_SE
	s_and_saveexec_b32 s33, vcc_lo
	s_cbranch_execz .LBB0_13
; %bb.12:
	v_add_f64_e32 v[0:1], v[146:147], v[150:151]
	v_add_f64_e32 v[2:3], v[144:145], v[148:149]
	scratch_load_b128 v[4:7], off, off offset:72 th:TH_LOAD_LU ; 16-byte Folded Reload
	v_add_f64_e64 v[194:195], v[188:189], -v[184:185]
	v_add_f64_e32 v[192:193], v[190:191], v[186:187]
	s_mov_b32 s10, 0xacd6c6b4
	s_mov_b32 s11, 0xbfc7851a
	;; [unrolled: 1-line block ×33, first 2 shown]
	v_add_f64_e32 v[0:1], v[0:1], v[154:155]
	v_add_f64_e32 v[2:3], v[2:3], v[152:153]
	s_wait_alu 0xfffe
	s_mov_b32 s36, s54
	v_mul_f64_e32 v[229:230], s[54:55], v[194:195]
	s_mov_b32 s52, s24
	s_mov_b32 s41, 0xbfd71e95
	;; [unrolled: 1-line block ×3, first 2 shown]
	v_mul_f64_e32 v[237:238], s[30:31], v[194:195]
	s_mov_b32 s47, 0x3feec746
	s_mov_b32 s46, s30
	s_mov_b32 s45, 0xbfe58eea
	s_mov_b32 s44, s42
	v_mul_f64_e32 v[245:246], s[38:39], v[194:195]
	s_mov_b32 s51, 0x3fe0d888
	s_mov_b32 s50, s18
	;; [unrolled: 1-line block ×4, first 2 shown]
	v_mul_f64_e32 v[253:254], s[24:25], v[194:195]
	v_mul_f64_e32 v[28:29], s[42:43], v[194:195]
	;; [unrolled: 1-line block ×4, first 2 shown]
	v_add_f64_e32 v[0:1], v[0:1], v[158:159]
	v_add_f64_e32 v[2:3], v[2:3], v[156:157]
	v_fma_f64 v[30:31], v[192:193], s[16:17], v[28:29]
	v_fma_f64 v[38:39], v[192:193], s[6:7], v[36:37]
	;; [unrolled: 1-line block ×3, first 2 shown]
	v_add_f64_e32 v[0:1], v[0:1], v[162:163]
	v_add_f64_e32 v[2:3], v[2:3], v[160:161]
	s_delay_alu instid0(VALU_DEP_2) | instskip(NEXT) | instid1(VALU_DEP_2)
	v_add_f64_e32 v[0:1], v[0:1], v[166:167]
	v_add_f64_e32 v[2:3], v[2:3], v[164:165]
	s_delay_alu instid0(VALU_DEP_2) | instskip(NEXT) | instid1(VALU_DEP_2)
	;; [unrolled: 3-line block ×4, first 2 shown]
	v_add_f64_e32 v[0:1], v[0:1], v[190:191]
	v_add_f64_e32 v[2:3], v[2:3], v[188:189]
	;; [unrolled: 1-line block ×3, first 2 shown]
	v_add_f64_e64 v[190:191], v[190:191], -v[186:187]
	s_delay_alu instid0(VALU_DEP_4) | instskip(NEXT) | instid1(VALU_DEP_4)
	v_add_f64_e32 v[0:1], v[0:1], v[186:187]
	v_add_f64_e32 v[2:3], v[2:3], v[184:185]
	v_add_f64_e64 v[186:187], v[180:181], -v[176:177]
	v_add_f64_e32 v[184:185], v[182:183], v[178:179]
	v_add_f64_e32 v[180:181], v[180:181], v[176:177]
	v_add_f64_e64 v[182:183], v[182:183], -v[178:179]
	v_mul_f64_e32 v[231:232], s[54:55], v[190:191]
	v_mul_f64_e32 v[239:240], s[30:31], v[190:191]
	v_add_f64_e32 v[0:1], v[0:1], v[178:179]
	v_add_f64_e32 v[2:3], v[2:3], v[176:177]
	v_add_f64_e64 v[178:179], v[168:169], -v[172:173]
	v_add_f64_e32 v[176:177], v[170:171], v[174:175]
	v_add_f64_e32 v[168:169], v[168:169], v[172:173]
	v_add_f64_e64 v[170:171], v[170:171], -v[174:175]
	v_mul_f64_e32 v[241:242], s[10:11], v[186:187]
	v_mul_f64_e32 v[243:244], s[10:11], v[182:183]
	s_wait_alu 0xfffe
	v_mul_f64_e32 v[24:25], s[52:53], v[182:183]
	v_mul_f64_e32 v[32:33], s[36:37], v[186:187]
	v_add_f64_e32 v[0:1], v[0:1], v[174:175]
	v_add_f64_e32 v[2:3], v[2:3], v[172:173]
	s_wait_loadcnt 0x0
	v_add_f64_e64 v[174:175], v[164:165], -v[4:5]
	v_add_f64_e32 v[172:173], v[166:167], v[6:7]
	v_add_f64_e32 v[164:165], v[164:165], v[4:5]
	v_add_f64_e64 v[166:167], v[166:167], -v[6:7]
	v_mul_f64_e32 v[40:41], s[46:47], v[170:171]
	v_fma_f64 v[26:27], v[180:181], s[14:15], -v[24:25]
	v_fma_f64 v[24:25], v[180:181], s[14:15], v[24:25]
	v_fma_f64 v[34:35], v[184:185], s[28:29], v[32:33]
	v_add_f64_e32 v[0:1], v[0:1], v[6:7]
	v_add_f64_e32 v[2:3], v[2:3], v[4:5]
	scratch_load_b128 v[4:7], off, off offset:56 th:TH_LOAD_LU ; 16-byte Folded Reload
	v_fma_f64 v[42:43], v[168:169], s[20:21], -v[40:41]
	s_wait_loadcnt 0x0
	v_add_f64_e64 v[198:199], v[160:161], -v[4:5]
	v_add_f64_e32 v[196:197], v[162:163], v[6:7]
	v_add_f64_e32 v[160:161], v[160:161], v[4:5]
	v_add_f64_e64 v[162:163], v[162:163], -v[6:7]
	v_add_f64_e32 v[0:1], v[0:1], v[6:7]
	v_add_f64_e32 v[2:3], v[2:3], v[4:5]
	scratch_load_b128 v[4:7], off, off offset:40 th:TH_LOAD_LU ; 16-byte Folded Reload
	s_wait_loadcnt 0x0
	v_add_f64_e64 v[202:203], v[156:157], -v[4:5]
	v_add_f64_e32 v[200:201], v[158:159], v[6:7]
	v_add_f64_e32 v[156:157], v[156:157], v[4:5]
	v_add_f64_e64 v[158:159], v[158:159], -v[6:7]
	v_add_f64_e32 v[0:1], v[0:1], v[6:7]
	v_add_f64_e32 v[2:3], v[2:3], v[4:5]
	scratch_load_b128 v[4:7], off, off offset:24 th:TH_LOAD_LU ; 16-byte Folded Reload
	s_wait_loadcnt 0x0
	v_add_f64_e32 v[204:205], v[154:155], v[6:7]
	v_add_f64_e64 v[154:155], v[154:155], -v[6:7]
	v_add_f64_e32 v[0:1], v[0:1], v[6:7]
	scratch_load_b128 v[6:9], off, off offset:8 th:TH_LOAD_LU ; 16-byte Folded Reload
	v_add_f64_e64 v[206:207], v[152:153], -v[4:5]
	v_add_f64_e32 v[152:153], v[152:153], v[4:5]
	v_add_f64_e32 v[4:5], v[2:3], v[4:5]
	v_mul_f64_e32 v[14:15], s[34:35], v[154:155]
	s_delay_alu instid0(VALU_DEP_4) | instskip(NEXT) | instid1(VALU_DEP_2)
	v_mul_f64_e32 v[10:11], s[34:35], v[206:207]
	v_fma_f64 v[16:17], v[152:153], s[26:27], -v[14:15]
	s_wait_loadcnt 0x0
	v_add_f64_e64 v[213:214], v[148:149], -v[6:7]
	v_add_f64_e32 v[211:212], v[150:151], v[8:9]
	v_add_f64_e64 v[215:216], v[150:151], -v[8:9]
	v_add_f64_e32 v[2:3], v[0:1], v[8:9]
	v_add_f64_e32 v[0:1], v[4:5], v[6:7]
	;; [unrolled: 1-line block ×3, first 2 shown]
	v_fma_f64 v[6:7], v[204:205], s[26:27], v[10:11]
	v_fma_f64 v[10:11], v[204:205], s[26:27], -v[10:11]
	v_mul_f64_e32 v[8:9], s[10:11], v[213:214]
	v_mul_f64_e32 v[12:13], s[10:11], v[215:216]
	scratch_store_b128 off, v[0:3], off offset:8 ; 16-byte Folded Spill
	v_mul_f64_e32 v[0:1], s[24:25], v[190:191]
	v_fma_f64 v[4:5], v[211:212], s[4:5], v[8:9]
	v_fma_f64 v[8:9], v[211:212], s[4:5], -v[8:9]
	s_delay_alu instid0(VALU_DEP_3) | instskip(SKIP_1) | instid1(VALU_DEP_4)
	v_fma_f64 v[2:3], v[188:189], s[14:15], -v[0:1]
	v_fma_f64 v[0:1], v[188:189], s[14:15], v[0:1]
	v_add_f64_e32 v[4:5], v[146:147], v[4:5]
	s_delay_alu instid0(VALU_DEP_4) | instskip(NEXT) | instid1(VALU_DEP_2)
	v_add_f64_e32 v[8:9], v[146:147], v[8:9]
	v_add_f64_e32 v[4:5], v[6:7], v[4:5]
	v_fma_f64 v[6:7], v[208:209], s[4:5], -v[12:13]
	s_delay_alu instid0(VALU_DEP_3) | instskip(SKIP_4) | instid1(VALU_DEP_4)
	v_add_f64_e32 v[8:9], v[10:11], v[8:9]
	v_fma_f64 v[10:11], v[208:209], s[4:5], v[12:13]
	v_fma_f64 v[12:13], v[152:153], s[26:27], v[14:15]
	;; [unrolled: 1-line block ×3, first 2 shown]
	v_add_f64_e32 v[6:7], v[144:145], v[6:7]
	v_add_f64_e32 v[10:11], v[144:145], v[10:11]
	s_delay_alu instid0(VALU_DEP_2) | instskip(SKIP_1) | instid1(VALU_DEP_3)
	v_add_f64_e32 v[6:7], v[16:17], v[6:7]
	v_mul_f64_e32 v[16:17], s[18:19], v[202:203]
	v_add_f64_e32 v[10:11], v[12:13], v[10:11]
	s_delay_alu instid0(VALU_DEP_2) | instskip(SKIP_2) | instid1(VALU_DEP_3)
	v_fma_f64 v[18:19], v[200:201], s[6:7], v[16:17]
	v_fma_f64 v[12:13], v[200:201], s[6:7], -v[16:17]
	v_mul_f64_e32 v[16:17], s[18:19], v[213:214]
	v_add_f64_e32 v[4:5], v[18:19], v[4:5]
	v_mul_f64_e32 v[18:19], s[18:19], v[158:159]
	s_delay_alu instid0(VALU_DEP_4) | instskip(NEXT) | instid1(VALU_DEP_2)
	v_add_f64_e32 v[8:9], v[12:13], v[8:9]
	v_fma_f64 v[20:21], v[156:157], s[6:7], -v[18:19]
	v_fma_f64 v[12:13], v[156:157], s[6:7], v[18:19]
	v_mul_f64_e32 v[18:19], s[38:39], v[206:207]
	s_delay_alu instid0(VALU_DEP_3) | instskip(SKIP_1) | instid1(VALU_DEP_4)
	v_add_f64_e32 v[6:7], v[20:21], v[6:7]
	v_mul_f64_e32 v[20:21], s[42:43], v[198:199]
	v_add_f64_e32 v[10:11], v[12:13], v[10:11]
	s_delay_alu instid0(VALU_DEP_2) | instskip(SKIP_2) | instid1(VALU_DEP_3)
	v_fma_f64 v[22:23], v[196:197], s[16:17], v[20:21]
	v_fma_f64 v[12:13], v[196:197], s[16:17], -v[20:21]
	v_mul_f64_e32 v[20:21], s[18:19], v[215:216]
	v_add_f64_e32 v[4:5], v[22:23], v[4:5]
	v_mul_f64_e32 v[22:23], s[42:43], v[162:163]
	s_delay_alu instid0(VALU_DEP_4) | instskip(NEXT) | instid1(VALU_DEP_2)
	v_add_f64_e32 v[8:9], v[12:13], v[8:9]
	v_fma_f64 v[148:149], v[160:161], s[16:17], -v[22:23]
	v_fma_f64 v[12:13], v[160:161], s[16:17], v[22:23]
	v_mul_f64_e32 v[22:23], s[38:39], v[154:155]
	s_delay_alu instid0(VALU_DEP_3) | instskip(SKIP_1) | instid1(VALU_DEP_4)
	v_add_f64_e32 v[6:7], v[148:149], v[6:7]
	v_mul_f64_e32 v[148:149], s[24:25], v[174:175]
	v_add_f64_e32 v[10:11], v[12:13], v[10:11]
	s_delay_alu instid0(VALU_DEP_2) | instskip(SKIP_2) | instid1(VALU_DEP_3)
	v_fma_f64 v[150:151], v[172:173], s[14:15], v[148:149]
	v_fma_f64 v[12:13], v[172:173], s[14:15], -v[148:149]
	v_fma_f64 v[148:149], v[152:153], s[22:23], -v[22:23]
	v_add_f64_e32 v[4:5], v[150:151], v[4:5]
	v_mul_f64_e32 v[150:151], s[24:25], v[166:167]
	s_delay_alu instid0(VALU_DEP_4) | instskip(NEXT) | instid1(VALU_DEP_2)
	v_add_f64_e32 v[8:9], v[12:13], v[8:9]
	v_fma_f64 v[219:220], v[164:165], s[14:15], -v[150:151]
	v_fma_f64 v[12:13], v[164:165], s[14:15], v[150:151]
	s_delay_alu instid0(VALU_DEP_2) | instskip(SKIP_1) | instid1(VALU_DEP_3)
	v_add_f64_e32 v[6:7], v[219:220], v[6:7]
	v_mul_f64_e32 v[219:220], s[38:39], v[178:179]
	v_add_f64_e32 v[10:11], v[12:13], v[10:11]
	s_delay_alu instid0(VALU_DEP_2) | instskip(SKIP_1) | instid1(VALU_DEP_2)
	v_fma_f64 v[221:222], v[176:177], s[22:23], v[219:220]
	v_fma_f64 v[12:13], v[176:177], s[22:23], -v[219:220]
	v_add_f64_e32 v[4:5], v[221:222], v[4:5]
	v_mul_f64_e32 v[221:222], s[38:39], v[170:171]
	s_delay_alu instid0(VALU_DEP_3) | instskip(NEXT) | instid1(VALU_DEP_2)
	v_add_f64_e32 v[8:9], v[12:13], v[8:9]
	v_fma_f64 v[223:224], v[168:169], s[22:23], -v[221:222]
	v_fma_f64 v[12:13], v[168:169], s[22:23], v[221:222]
	s_delay_alu instid0(VALU_DEP_2) | instskip(SKIP_1) | instid1(VALU_DEP_3)
	v_add_f64_e32 v[6:7], v[223:224], v[6:7]
	v_mul_f64_e32 v[223:224], s[30:31], v[186:187]
	v_add_f64_e32 v[10:11], v[12:13], v[10:11]
	s_delay_alu instid0(VALU_DEP_2) | instskip(SKIP_1) | instid1(VALU_DEP_2)
	v_fma_f64 v[225:226], v[184:185], s[20:21], v[223:224]
	v_fma_f64 v[12:13], v[184:185], s[20:21], -v[223:224]
	v_add_f64_e32 v[4:5], v[225:226], v[4:5]
	v_mul_f64_e32 v[225:226], s[30:31], v[182:183]
	s_delay_alu instid0(VALU_DEP_3) | instskip(NEXT) | instid1(VALU_DEP_2)
	v_add_f64_e32 v[8:9], v[12:13], v[8:9]
	v_fma_f64 v[12:13], v[180:181], s[20:21], v[225:226]
	v_fma_f64 v[227:228], v[180:181], s[20:21], -v[225:226]
	s_delay_alu instid0(VALU_DEP_2) | instskip(SKIP_1) | instid1(VALU_DEP_3)
	v_add_f64_e32 v[12:13], v[12:13], v[10:11]
	v_fma_f64 v[10:11], v[192:193], s[28:29], -v[229:230]
	v_add_f64_e32 v[227:228], v[227:228], v[6:7]
	v_fma_f64 v[6:7], v[192:193], s[28:29], v[229:230]
	s_delay_alu instid0(VALU_DEP_3)
	v_add_f64_e32 v[10:11], v[10:11], v[8:9]
	v_add_f64_e32 v[8:9], v[14:15], v[12:13]
	v_fma_f64 v[12:13], v[211:212], s[6:7], v[16:17]
	v_fma_f64 v[14:15], v[204:205], s[22:23], v[18:19]
	v_fma_f64 v[16:17], v[211:212], s[6:7], -v[16:17]
	v_fma_f64 v[18:19], v[204:205], s[22:23], -v[18:19]
	v_add_f64_e32 v[6:7], v[6:7], v[4:5]
	v_fma_f64 v[4:5], v[188:189], s[28:29], -v[231:232]
	v_add_f64_e32 v[12:13], v[146:147], v[12:13]
	v_add_f64_e32 v[16:17], v[146:147], v[16:17]
	s_delay_alu instid0(VALU_DEP_3) | instskip(NEXT) | instid1(VALU_DEP_3)
	v_add_f64_e32 v[4:5], v[4:5], v[227:228]
	v_add_f64_e32 v[12:13], v[14:15], v[12:13]
	v_fma_f64 v[14:15], v[208:209], s[6:7], -v[20:21]
	s_delay_alu instid0(VALU_DEP_4) | instskip(SKIP_4) | instid1(VALU_DEP_4)
	v_add_f64_e32 v[16:17], v[18:19], v[16:17]
	v_fma_f64 v[18:19], v[208:209], s[6:7], v[20:21]
	v_fma_f64 v[20:21], v[152:153], s[22:23], v[22:23]
	;; [unrolled: 1-line block ×3, first 2 shown]
	v_add_f64_e32 v[14:15], v[144:145], v[14:15]
	v_add_f64_e32 v[18:19], v[144:145], v[18:19]
	s_delay_alu instid0(VALU_DEP_2) | instskip(SKIP_1) | instid1(VALU_DEP_3)
	v_add_f64_e32 v[14:15], v[148:149], v[14:15]
	v_mul_f64_e32 v[148:149], s[36:37], v[202:203]
	v_add_f64_e32 v[18:19], v[20:21], v[18:19]
	s_delay_alu instid0(VALU_DEP_2) | instskip(SKIP_1) | instid1(VALU_DEP_2)
	v_fma_f64 v[150:151], v[200:201], s[28:29], v[148:149]
	v_fma_f64 v[20:21], v[200:201], s[28:29], -v[148:149]
	v_add_f64_e32 v[12:13], v[150:151], v[12:13]
	v_mul_f64_e32 v[150:151], s[36:37], v[158:159]
	s_delay_alu instid0(VALU_DEP_3) | instskip(NEXT) | instid1(VALU_DEP_2)
	v_add_f64_e32 v[16:17], v[20:21], v[16:17]
	v_fma_f64 v[219:220], v[156:157], s[28:29], -v[150:151]
	v_fma_f64 v[20:21], v[156:157], s[28:29], v[150:151]
	s_delay_alu instid0(VALU_DEP_2) | instskip(SKIP_1) | instid1(VALU_DEP_3)
	v_add_f64_e32 v[14:15], v[219:220], v[14:15]
	v_mul_f64_e32 v[219:220], s[52:53], v[198:199]
	v_add_f64_e32 v[18:19], v[20:21], v[18:19]
	s_delay_alu instid0(VALU_DEP_2) | instskip(SKIP_2) | instid1(VALU_DEP_3)
	v_fma_f64 v[221:222], v[196:197], s[14:15], v[219:220]
	v_fma_f64 v[20:21], v[196:197], s[14:15], -v[219:220]
	v_mul_f64_e32 v[219:220], s[46:47], v[206:207]
	v_add_f64_e32 v[12:13], v[221:222], v[12:13]
	v_mul_f64_e32 v[221:222], s[52:53], v[162:163]
	s_delay_alu instid0(VALU_DEP_4) | instskip(NEXT) | instid1(VALU_DEP_4)
	v_add_f64_e32 v[16:17], v[20:21], v[16:17]
	v_fma_f64 v[148:149], v[204:205], s[20:21], v[219:220]
	v_fma_f64 v[219:220], v[204:205], s[20:21], -v[219:220]
	s_delay_alu instid0(VALU_DEP_4) | instskip(SKIP_2) | instid1(VALU_DEP_3)
	v_fma_f64 v[223:224], v[160:161], s[14:15], -v[221:222]
	v_fma_f64 v[20:21], v[160:161], s[14:15], v[221:222]
	v_mul_f64_e32 v[221:222], s[24:25], v[215:216]
	v_add_f64_e32 v[14:15], v[223:224], v[14:15]
	v_mul_f64_e32 v[223:224], s[40:41], v[174:175]
	s_delay_alu instid0(VALU_DEP_4) | instskip(NEXT) | instid1(VALU_DEP_2)
	v_add_f64_e32 v[18:19], v[20:21], v[18:19]
	v_fma_f64 v[225:226], v[172:173], s[26:27], v[223:224]
	v_fma_f64 v[20:21], v[172:173], s[26:27], -v[223:224]
	v_mul_f64_e32 v[223:224], s[46:47], v[154:155]
	s_delay_alu instid0(VALU_DEP_3) | instskip(SKIP_1) | instid1(VALU_DEP_4)
	v_add_f64_e32 v[12:13], v[225:226], v[12:13]
	v_mul_f64_e32 v[225:226], s[40:41], v[166:167]
	v_add_f64_e32 v[16:17], v[20:21], v[16:17]
	s_delay_alu instid0(VALU_DEP_4) | instskip(NEXT) | instid1(VALU_DEP_3)
	v_fma_f64 v[150:151], v[152:153], s[20:21], -v[223:224]
	v_fma_f64 v[227:228], v[164:165], s[26:27], -v[225:226]
	v_fma_f64 v[20:21], v[164:165], s[26:27], v[225:226]
	v_mul_f64_e32 v[225:226], s[40:41], v[202:203]
	s_delay_alu instid0(VALU_DEP_3) | instskip(SKIP_1) | instid1(VALU_DEP_4)
	v_add_f64_e32 v[14:15], v[227:228], v[14:15]
	v_mul_f64_e32 v[227:228], s[10:11], v[178:179]
	v_add_f64_e32 v[18:19], v[20:21], v[18:19]
	s_delay_alu instid0(VALU_DEP_2) | instskip(SKIP_2) | instid1(VALU_DEP_3)
	v_fma_f64 v[229:230], v[176:177], s[4:5], v[227:228]
	v_fma_f64 v[20:21], v[176:177], s[4:5], -v[227:228]
	v_mul_f64_e32 v[227:228], s[40:41], v[158:159]
	v_add_f64_e32 v[12:13], v[229:230], v[12:13]
	v_mul_f64_e32 v[229:230], s[10:11], v[170:171]
	s_delay_alu instid0(VALU_DEP_4) | instskip(NEXT) | instid1(VALU_DEP_2)
	v_add_f64_e32 v[16:17], v[20:21], v[16:17]
	v_fma_f64 v[231:232], v[168:169], s[4:5], -v[229:230]
	v_fma_f64 v[20:21], v[168:169], s[4:5], v[229:230]
	v_mul_f64_e32 v[229:230], s[18:19], v[198:199]
	s_delay_alu instid0(VALU_DEP_3) | instskip(SKIP_1) | instid1(VALU_DEP_4)
	v_add_f64_e32 v[14:15], v[231:232], v[14:15]
	v_mul_f64_e32 v[231:232], s[42:43], v[186:187]
	v_add_f64_e32 v[18:19], v[20:21], v[18:19]
	s_delay_alu instid0(VALU_DEP_2) | instskip(SKIP_2) | instid1(VALU_DEP_3)
	v_fma_f64 v[233:234], v[184:185], s[16:17], v[231:232]
	v_fma_f64 v[20:21], v[184:185], s[16:17], -v[231:232]
	v_mul_f64_e32 v[231:232], s[18:19], v[162:163]
	v_add_f64_e32 v[12:13], v[233:234], v[12:13]
	v_mul_f64_e32 v[233:234], s[42:43], v[182:183]
	s_delay_alu instid0(VALU_DEP_4) | instskip(NEXT) | instid1(VALU_DEP_2)
	v_add_f64_e32 v[16:17], v[20:21], v[16:17]
	v_fma_f64 v[20:21], v[180:181], s[16:17], v[233:234]
	v_fma_f64 v[235:236], v[180:181], s[16:17], -v[233:234]
	v_mul_f64_e32 v[233:234], s[54:55], v[174:175]
	s_delay_alu instid0(VALU_DEP_3) | instskip(SKIP_1) | instid1(VALU_DEP_4)
	v_add_f64_e32 v[20:21], v[20:21], v[18:19]
	v_fma_f64 v[18:19], v[192:193], s[20:21], -v[237:238]
	v_add_f64_e32 v[235:236], v[235:236], v[14:15]
	v_fma_f64 v[14:15], v[192:193], s[20:21], v[237:238]
	v_mul_f64_e32 v[237:238], s[44:45], v[178:179]
	s_delay_alu instid0(VALU_DEP_4)
	v_add_f64_e32 v[18:19], v[18:19], v[16:17]
	v_add_f64_e32 v[16:17], v[22:23], v[20:21]
	v_mul_f64_e32 v[20:21], s[24:25], v[213:214]
	v_add_f64_e32 v[14:15], v[14:15], v[12:13]
	v_fma_f64 v[12:13], v[188:189], s[20:21], -v[239:240]
	v_mul_f64_e32 v[239:240], s[44:45], v[170:171]
	s_delay_alu instid0(VALU_DEP_4) | instskip(SKIP_1) | instid1(VALU_DEP_4)
	v_fma_f64 v[22:23], v[211:212], s[14:15], v[20:21]
	v_fma_f64 v[20:21], v[211:212], s[14:15], -v[20:21]
	v_add_f64_e32 v[12:13], v[12:13], v[235:236]
	v_mul_f64_e32 v[235:236], s[54:55], v[166:167]
	s_delay_alu instid0(VALU_DEP_4) | instskip(NEXT) | instid1(VALU_DEP_4)
	v_add_f64_e32 v[22:23], v[146:147], v[22:23]
	v_add_f64_e32 v[20:21], v[146:147], v[20:21]
	s_delay_alu instid0(VALU_DEP_2) | instskip(SKIP_1) | instid1(VALU_DEP_3)
	v_add_f64_e32 v[22:23], v[148:149], v[22:23]
	v_fma_f64 v[148:149], v[208:209], s[14:15], -v[221:222]
	v_add_f64_e32 v[20:21], v[219:220], v[20:21]
	v_fma_f64 v[219:220], v[208:209], s[14:15], v[221:222]
	v_fma_f64 v[221:222], v[152:153], s[20:21], v[223:224]
	s_delay_alu instid0(VALU_DEP_4) | instskip(NEXT) | instid1(VALU_DEP_3)
	v_add_f64_e32 v[148:149], v[144:145], v[148:149]
	v_add_f64_e32 v[219:220], v[144:145], v[219:220]
	s_delay_alu instid0(VALU_DEP_2) | instskip(SKIP_1) | instid1(VALU_DEP_3)
	v_add_f64_e32 v[148:149], v[150:151], v[148:149]
	v_fma_f64 v[150:151], v[200:201], s[26:27], v[225:226]
	v_add_f64_e32 v[219:220], v[221:222], v[219:220]
	v_fma_f64 v[221:222], v[200:201], s[26:27], -v[225:226]
	v_mul_f64_e32 v[225:226], s[50:51], v[206:207]
	s_delay_alu instid0(VALU_DEP_4) | instskip(SKIP_1) | instid1(VALU_DEP_4)
	v_add_f64_e32 v[22:23], v[150:151], v[22:23]
	v_fma_f64 v[150:151], v[156:157], s[26:27], -v[227:228]
	v_add_f64_e32 v[20:21], v[221:222], v[20:21]
	v_fma_f64 v[221:222], v[156:157], s[26:27], v[227:228]
	v_mul_f64_e32 v[227:228], s[30:31], v[215:216]
	s_delay_alu instid0(VALU_DEP_4) | instskip(SKIP_1) | instid1(VALU_DEP_4)
	v_add_f64_e32 v[148:149], v[150:151], v[148:149]
	v_fma_f64 v[150:151], v[196:197], s[6:7], v[229:230]
	v_add_f64_e32 v[219:220], v[221:222], v[219:220]
	v_fma_f64 v[221:222], v[196:197], s[6:7], -v[229:230]
	v_mul_f64_e32 v[229:230], s[50:51], v[154:155]
	s_delay_alu instid0(VALU_DEP_4) | instskip(SKIP_1) | instid1(VALU_DEP_4)
	v_add_f64_e32 v[22:23], v[150:151], v[22:23]
	v_fma_f64 v[150:151], v[160:161], s[6:7], -v[231:232]
	v_add_f64_e32 v[20:21], v[221:222], v[20:21]
	v_fma_f64 v[221:222], v[160:161], s[6:7], v[231:232]
	v_fma_f64 v[231:232], v[152:153], s[6:7], -v[229:230]
	s_delay_alu instid0(VALU_DEP_4) | instskip(SKIP_1) | instid1(VALU_DEP_4)
	v_add_f64_e32 v[148:149], v[150:151], v[148:149]
	v_fma_f64 v[150:151], v[172:173], s[28:29], v[233:234]
	v_add_f64_e32 v[219:220], v[221:222], v[219:220]
	v_fma_f64 v[221:222], v[172:173], s[28:29], -v[233:234]
	s_delay_alu instid0(VALU_DEP_3) | instskip(SKIP_1) | instid1(VALU_DEP_3)
	v_add_f64_e32 v[22:23], v[150:151], v[22:23]
	v_fma_f64 v[150:151], v[164:165], s[28:29], -v[235:236]
	v_add_f64_e32 v[20:21], v[221:222], v[20:21]
	v_fma_f64 v[221:222], v[164:165], s[28:29], v[235:236]
	s_delay_alu instid0(VALU_DEP_3) | instskip(SKIP_1) | instid1(VALU_DEP_3)
	v_add_f64_e32 v[148:149], v[150:151], v[148:149]
	v_fma_f64 v[150:151], v[176:177], s[16:17], v[237:238]
	v_add_f64_e32 v[219:220], v[221:222], v[219:220]
	v_fma_f64 v[221:222], v[176:177], s[16:17], -v[237:238]
	s_delay_alu instid0(VALU_DEP_3) | instskip(SKIP_1) | instid1(VALU_DEP_3)
	v_add_f64_e32 v[22:23], v[150:151], v[22:23]
	v_fma_f64 v[150:151], v[168:169], s[16:17], -v[239:240]
	v_add_f64_e32 v[20:21], v[221:222], v[20:21]
	v_fma_f64 v[221:222], v[168:169], s[16:17], v[239:240]
	s_delay_alu instid0(VALU_DEP_3) | instskip(SKIP_1) | instid1(VALU_DEP_3)
	;; [unrolled: 10-line block ×3, first 2 shown]
	v_add_f64_e32 v[148:149], v[150:151], v[148:149]
	v_fma_f64 v[150:151], v[192:193], s[22:23], v[245:246]
	v_add_f64_e32 v[219:220], v[221:222], v[219:220]
	v_fma_f64 v[221:222], v[192:193], s[22:23], -v[245:246]
	s_delay_alu instid0(VALU_DEP_3) | instskip(SKIP_1) | instid1(VALU_DEP_1)
	v_add_f64_e32 v[150:151], v[150:151], v[22:23]
	v_mul_f64_e32 v[22:23], s[38:39], v[190:191]
	v_fma_f64 v[223:224], v[188:189], s[22:23], v[22:23]
	v_fma_f64 v[247:248], v[188:189], s[22:23], -v[22:23]
	v_add_f64_e32 v[22:23], v[221:222], v[20:21]
	v_fma_f64 v[221:222], v[204:205], s[6:7], v[225:226]
	s_delay_alu instid0(VALU_DEP_4) | instskip(SKIP_2) | instid1(VALU_DEP_2)
	v_add_f64_e32 v[20:21], v[223:224], v[219:220]
	v_mul_f64_e32 v[223:224], s[30:31], v[213:214]
	v_add_f64_e32 v[148:149], v[247:248], v[148:149]
	v_fma_f64 v[219:220], v[211:212], s[20:21], v[223:224]
	s_delay_alu instid0(VALU_DEP_1) | instskip(NEXT) | instid1(VALU_DEP_1)
	v_add_f64_e32 v[219:220], v[146:147], v[219:220]
	v_add_f64_e32 v[219:220], v[221:222], v[219:220]
	v_fma_f64 v[221:222], v[208:209], s[20:21], -v[227:228]
	s_delay_alu instid0(VALU_DEP_1) | instskip(NEXT) | instid1(VALU_DEP_1)
	v_add_f64_e32 v[221:222], v[144:145], v[221:222]
	v_add_f64_e32 v[221:222], v[231:232], v[221:222]
	v_mul_f64_e32 v[231:232], s[42:43], v[202:203]
	s_delay_alu instid0(VALU_DEP_1) | instskip(NEXT) | instid1(VALU_DEP_1)
	v_fma_f64 v[233:234], v[200:201], s[16:17], v[231:232]
	v_add_f64_e32 v[219:220], v[233:234], v[219:220]
	v_mul_f64_e32 v[233:234], s[42:43], v[158:159]
	s_delay_alu instid0(VALU_DEP_1) | instskip(NEXT) | instid1(VALU_DEP_1)
	v_fma_f64 v[235:236], v[156:157], s[16:17], -v[233:234]
	v_add_f64_e32 v[221:222], v[235:236], v[221:222]
	v_mul_f64_e32 v[235:236], s[48:49], v[198:199]
	s_delay_alu instid0(VALU_DEP_1) | instskip(NEXT) | instid1(VALU_DEP_1)
	v_fma_f64 v[237:238], v[196:197], s[22:23], v[235:236]
	v_add_f64_e32 v[219:220], v[237:238], v[219:220]
	v_mul_f64_e32 v[237:238], s[48:49], v[162:163]
	s_delay_alu instid0(VALU_DEP_1) | instskip(NEXT) | instid1(VALU_DEP_1)
	v_fma_f64 v[239:240], v[160:161], s[22:23], -v[237:238]
	;; [unrolled: 8-line block ×5, first 2 shown]
	v_add_f64_e32 v[251:252], v[251:252], v[221:222]
	v_fma_f64 v[221:222], v[192:193], s[14:15], v[253:254]
	s_delay_alu instid0(VALU_DEP_1) | instskip(NEXT) | instid1(VALU_DEP_3)
	v_add_f64_e32 v[221:222], v[221:222], v[219:220]
	v_add_f64_e32 v[219:220], v[2:3], v[251:252]
	v_fma_f64 v[2:3], v[211:212], s[20:21], -v[223:224]
	v_fma_f64 v[223:224], v[204:205], s[6:7], -v[225:226]
	v_fma_f64 v[225:226], v[152:153], s[6:7], v[229:230]
	v_mul_f64_e32 v[251:252], s[18:19], v[170:171]
	s_delay_alu instid0(VALU_DEP_4) | instskip(NEXT) | instid1(VALU_DEP_1)
	v_add_f64_e32 v[2:3], v[146:147], v[2:3]
	v_add_f64_e32 v[2:3], v[223:224], v[2:3]
	v_fma_f64 v[223:224], v[208:209], s[20:21], v[227:228]
	s_delay_alu instid0(VALU_DEP_1) | instskip(NEXT) | instid1(VALU_DEP_1)
	v_add_f64_e32 v[223:224], v[144:145], v[223:224]
	v_add_f64_e32 v[223:224], v[225:226], v[223:224]
	v_fma_f64 v[225:226], v[200:201], s[16:17], -v[231:232]
	v_mul_f64_e32 v[231:232], s[10:11], v[206:207]
	s_delay_alu instid0(VALU_DEP_2) | instskip(SKIP_1) | instid1(VALU_DEP_3)
	v_add_f64_e32 v[2:3], v[225:226], v[2:3]
	v_fma_f64 v[225:226], v[156:157], s[16:17], v[233:234]
	v_fma_f64 v[227:228], v[204:205], s[4:5], v[231:232]
	v_mul_f64_e32 v[233:234], s[36:37], v[215:216]
	s_delay_alu instid0(VALU_DEP_3) | instskip(SKIP_2) | instid1(VALU_DEP_2)
	v_add_f64_e32 v[223:224], v[225:226], v[223:224]
	v_fma_f64 v[225:226], v[196:197], s[22:23], -v[235:236]
	v_mul_f64_e32 v[235:236], s[10:11], v[154:155]
	v_add_f64_e32 v[2:3], v[225:226], v[2:3]
	v_fma_f64 v[225:226], v[160:161], s[22:23], v[237:238]
	s_delay_alu instid0(VALU_DEP_3) | instskip(SKIP_1) | instid1(VALU_DEP_3)
	v_fma_f64 v[229:230], v[152:153], s[4:5], -v[235:236]
	v_mul_f64_e32 v[237:238], s[46:47], v[202:203]
	v_add_f64_e32 v[223:224], v[225:226], v[223:224]
	v_fma_f64 v[225:226], v[172:173], s[4:5], -v[239:240]
	v_mul_f64_e32 v[239:240], s[46:47], v[158:159]
	s_delay_alu instid0(VALU_DEP_2) | instskip(SKIP_2) | instid1(VALU_DEP_2)
	v_add_f64_e32 v[2:3], v[225:226], v[2:3]
	v_fma_f64 v[225:226], v[164:165], s[4:5], v[241:242]
	v_mul_f64_e32 v[241:242], s[34:35], v[198:199]
	v_add_f64_e32 v[223:224], v[225:226], v[223:224]
	v_fma_f64 v[225:226], v[176:177], s[28:29], -v[243:244]
	v_mul_f64_e32 v[243:244], s[34:35], v[162:163]
	s_delay_alu instid0(VALU_DEP_2) | instskip(SKIP_2) | instid1(VALU_DEP_2)
	v_add_f64_e32 v[2:3], v[225:226], v[2:3]
	v_fma_f64 v[225:226], v[168:169], s[28:29], v[245:246]
	;; [unrolled: 7-line block ×3, first 2 shown]
	v_mul_f64_e32 v[249:250], s[18:19], v[178:179]
	v_add_f64_e32 v[223:224], v[225:226], v[223:224]
	v_fma_f64 v[225:226], v[192:193], s[14:15], -v[253:254]
	v_mul_f64_e32 v[253:254], s[52:53], v[186:187]
	s_mov_b32 s53, 0x3fc7851a
	s_mov_b32 s52, s10
	s_delay_alu instid0(VALU_DEP_3) | instskip(SKIP_1) | instid1(VALU_DEP_4)
	v_add_f64_e32 v[223:224], v[0:1], v[223:224]
	v_mul_f64_e32 v[0:1], s[36:37], v[213:214]
	v_add_f64_e32 v[225:226], v[225:226], v[2:3]
	s_delay_alu instid0(VALU_DEP_2) | instskip(SKIP_1) | instid1(VALU_DEP_2)
	v_fma_f64 v[2:3], v[211:212], s[28:29], v[0:1]
	v_fma_f64 v[0:1], v[211:212], s[28:29], -v[0:1]
	v_add_f64_e32 v[2:3], v[146:147], v[2:3]
	s_delay_alu instid0(VALU_DEP_2) | instskip(NEXT) | instid1(VALU_DEP_2)
	v_add_f64_e32 v[0:1], v[146:147], v[0:1]
	v_add_f64_e32 v[2:3], v[227:228], v[2:3]
	v_fma_f64 v[227:228], v[208:209], s[28:29], -v[233:234]
	s_delay_alu instid0(VALU_DEP_1) | instskip(NEXT) | instid1(VALU_DEP_1)
	v_add_f64_e32 v[227:228], v[144:145], v[227:228]
	v_add_f64_e32 v[227:228], v[229:230], v[227:228]
	v_fma_f64 v[229:230], v[200:201], s[20:21], v[237:238]
	s_delay_alu instid0(VALU_DEP_1) | instskip(SKIP_1) | instid1(VALU_DEP_1)
	v_add_f64_e32 v[2:3], v[229:230], v[2:3]
	v_fma_f64 v[229:230], v[156:157], s[20:21], -v[239:240]
	v_add_f64_e32 v[227:228], v[229:230], v[227:228]
	v_fma_f64 v[229:230], v[196:197], s[26:27], v[241:242]
	s_delay_alu instid0(VALU_DEP_1) | instskip(SKIP_1) | instid1(VALU_DEP_1)
	v_add_f64_e32 v[2:3], v[229:230], v[2:3]
	v_fma_f64 v[229:230], v[160:161], s[26:27], -v[243:244]
	v_add_f64_e32 v[227:228], v[229:230], v[227:228]
	v_fma_f64 v[229:230], v[172:173], s[22:23], v[245:246]
	s_delay_alu instid0(VALU_DEP_1) | instskip(SKIP_1) | instid1(VALU_DEP_1)
	v_add_f64_e32 v[2:3], v[229:230], v[2:3]
	v_fma_f64 v[229:230], v[164:165], s[22:23], -v[247:248]
	v_add_f64_e32 v[227:228], v[229:230], v[227:228]
	v_fma_f64 v[229:230], v[176:177], s[6:7], v[249:250]
	s_delay_alu instid0(VALU_DEP_1) | instskip(SKIP_1) | instid1(VALU_DEP_1)
	v_add_f64_e32 v[2:3], v[229:230], v[2:3]
	v_fma_f64 v[229:230], v[168:169], s[6:7], -v[251:252]
	v_add_f64_e32 v[227:228], v[229:230], v[227:228]
	v_fma_f64 v[229:230], v[184:185], s[14:15], v[253:254]
	s_delay_alu instid0(VALU_DEP_2) | instskip(NEXT) | instid1(VALU_DEP_2)
	v_add_f64_e32 v[26:27], v[26:27], v[227:228]
	v_add_f64_e32 v[2:3], v[229:230], v[2:3]
	s_delay_alu instid0(VALU_DEP_1) | instskip(SKIP_1) | instid1(VALU_DEP_1)
	v_add_f64_e32 v[229:230], v[30:31], v[2:3]
	v_mul_f64_e32 v[2:3], s[42:43], v[190:191]
	v_fma_f64 v[30:31], v[188:189], s[16:17], -v[2:3]
	v_fma_f64 v[2:3], v[188:189], s[16:17], v[2:3]
	s_delay_alu instid0(VALU_DEP_2) | instskip(SKIP_2) | instid1(VALU_DEP_2)
	v_add_f64_e32 v[227:228], v[30:31], v[26:27]
	v_fma_f64 v[26:27], v[204:205], s[4:5], -v[231:232]
	v_fma_f64 v[30:31], v[152:153], s[4:5], v[235:236]
	v_add_f64_e32 v[0:1], v[26:27], v[0:1]
	v_fma_f64 v[26:27], v[208:209], s[28:29], v[233:234]
	s_delay_alu instid0(VALU_DEP_1) | instskip(NEXT) | instid1(VALU_DEP_1)
	v_add_f64_e32 v[26:27], v[144:145], v[26:27]
	v_add_f64_e32 v[26:27], v[30:31], v[26:27]
	v_fma_f64 v[30:31], v[200:201], s[20:21], -v[237:238]
	s_delay_alu instid0(VALU_DEP_1) | instskip(SKIP_3) | instid1(VALU_DEP_2)
	v_add_f64_e32 v[0:1], v[30:31], v[0:1]
	v_fma_f64 v[30:31], v[156:157], s[20:21], v[239:240]
	s_wait_alu 0xfffe
	v_mul_f64_e32 v[239:240], s[52:53], v[202:203]
	v_add_f64_e32 v[26:27], v[30:31], v[26:27]
	v_fma_f64 v[30:31], v[196:197], s[26:27], -v[241:242]
	v_mul_f64_e32 v[241:242], s[52:53], v[158:159]
	s_delay_alu instid0(VALU_DEP_2) | instskip(SKIP_2) | instid1(VALU_DEP_2)
	v_add_f64_e32 v[0:1], v[30:31], v[0:1]
	v_fma_f64 v[30:31], v[160:161], s[26:27], v[243:244]
	v_mul_f64_e32 v[243:244], s[46:47], v[198:199]
	v_add_f64_e32 v[26:27], v[30:31], v[26:27]
	v_fma_f64 v[30:31], v[172:173], s[22:23], -v[245:246]
	v_mul_f64_e32 v[245:246], s[46:47], v[162:163]
	s_delay_alu instid0(VALU_DEP_2) | instskip(SKIP_2) | instid1(VALU_DEP_2)
	v_add_f64_e32 v[0:1], v[30:31], v[0:1]
	v_fma_f64 v[30:31], v[164:165], s[22:23], v[247:248]
	;; [unrolled: 7-line block ×3, first 2 shown]
	v_mul_f64_e32 v[251:252], s[40:41], v[178:179]
	v_add_f64_e32 v[26:27], v[30:31], v[26:27]
	v_fma_f64 v[30:31], v[184:185], s[14:15], -v[253:254]
	v_mul_f64_e32 v[253:254], s[40:41], v[170:171]
	s_delay_alu instid0(VALU_DEP_3) | instskip(NEXT) | instid1(VALU_DEP_3)
	v_add_f64_e32 v[24:25], v[24:25], v[26:27]
	v_add_f64_e32 v[0:1], v[30:31], v[0:1]
	v_fma_f64 v[26:27], v[192:193], s[16:17], -v[28:29]
	v_mul_f64_e32 v[30:31], s[24:25], v[154:155]
	s_delay_alu instid0(VALU_DEP_4) | instskip(SKIP_1) | instid1(VALU_DEP_4)
	v_add_f64_e32 v[231:232], v[2:3], v[24:25]
	v_mul_f64_e32 v[24:25], s[24:25], v[206:207]
	v_add_f64_e32 v[233:234], v[26:27], v[0:1]
	v_mul_f64_e32 v[0:1], s[48:49], v[213:214]
	v_fma_f64 v[235:236], v[152:153], s[14:15], -v[30:31]
	s_delay_alu instid0(VALU_DEP_4) | instskip(SKIP_1) | instid1(VALU_DEP_4)
	v_fma_f64 v[26:27], v[204:205], s[14:15], v[24:25]
	v_fma_f64 v[24:25], v[204:205], s[14:15], -v[24:25]
	v_fma_f64 v[2:3], v[211:212], s[22:23], v[0:1]
	v_fma_f64 v[0:1], v[211:212], s[22:23], -v[0:1]
	s_delay_alu instid0(VALU_DEP_2) | instskip(NEXT) | instid1(VALU_DEP_2)
	v_add_f64_e32 v[2:3], v[146:147], v[2:3]
	v_add_f64_e32 v[0:1], v[146:147], v[0:1]
	s_delay_alu instid0(VALU_DEP_2) | instskip(SKIP_1) | instid1(VALU_DEP_3)
	v_add_f64_e32 v[2:3], v[26:27], v[2:3]
	v_mul_f64_e32 v[26:27], s[48:49], v[215:216]
	v_add_f64_e32 v[0:1], v[24:25], v[0:1]
	v_fma_f64 v[24:25], v[200:201], s[4:5], -v[239:240]
	s_delay_alu instid0(VALU_DEP_3) | instskip(NEXT) | instid1(VALU_DEP_2)
	v_fma_f64 v[28:29], v[208:209], s[22:23], -v[26:27]
	v_add_f64_e32 v[0:1], v[24:25], v[0:1]
	v_fma_f64 v[24:25], v[196:197], s[20:21], -v[243:244]
	s_delay_alu instid0(VALU_DEP_3) | instskip(NEXT) | instid1(VALU_DEP_2)
	v_add_f64_e32 v[28:29], v[144:145], v[28:29]
	v_add_f64_e32 v[0:1], v[24:25], v[0:1]
	v_fma_f64 v[24:25], v[172:173], s[16:17], -v[247:248]
	s_delay_alu instid0(VALU_DEP_3) | instskip(SKIP_1) | instid1(VALU_DEP_3)
	v_add_f64_e32 v[28:29], v[235:236], v[28:29]
	v_fma_f64 v[235:236], v[200:201], s[4:5], v[239:240]
	v_add_f64_e32 v[0:1], v[24:25], v[0:1]
	v_fma_f64 v[24:25], v[176:177], s[26:27], -v[251:252]
	s_delay_alu instid0(VALU_DEP_3) | instskip(SKIP_1) | instid1(VALU_DEP_3)
	v_add_f64_e32 v[2:3], v[235:236], v[2:3]
	v_fma_f64 v[235:236], v[156:157], s[4:5], -v[241:242]
	v_add_f64_e32 v[0:1], v[24:25], v[0:1]
	v_fma_f64 v[24:25], v[184:185], s[28:29], -v[32:33]
	s_delay_alu instid0(VALU_DEP_3) | instskip(SKIP_1) | instid1(VALU_DEP_3)
	v_add_f64_e32 v[28:29], v[235:236], v[28:29]
	v_fma_f64 v[235:236], v[196:197], s[20:21], v[243:244]
	v_add_f64_e32 v[0:1], v[24:25], v[0:1]
	v_fma_f64 v[24:25], v[208:209], s[22:23], v[26:27]
	v_fma_f64 v[26:27], v[152:153], s[14:15], v[30:31]
	s_delay_alu instid0(VALU_DEP_4) | instskip(SKIP_1) | instid1(VALU_DEP_4)
	v_add_f64_e32 v[2:3], v[235:236], v[2:3]
	v_fma_f64 v[235:236], v[160:161], s[20:21], -v[245:246]
	v_add_f64_e32 v[24:25], v[144:145], v[24:25]
	s_delay_alu instid0(VALU_DEP_2) | instskip(SKIP_2) | instid1(VALU_DEP_4)
	v_add_f64_e32 v[28:29], v[235:236], v[28:29]
	v_fma_f64 v[235:236], v[172:173], s[16:17], v[247:248]
	v_mul_f64_e32 v[247:248], s[36:37], v[154:155]
	v_add_f64_e32 v[24:25], v[26:27], v[24:25]
	v_fma_f64 v[26:27], v[156:157], s[4:5], v[241:242]
	s_delay_alu instid0(VALU_DEP_4) | instskip(SKIP_2) | instid1(VALU_DEP_4)
	v_add_f64_e32 v[2:3], v[235:236], v[2:3]
	v_fma_f64 v[235:236], v[164:165], s[16:17], -v[249:250]
	v_fma_f64 v[243:244], v[152:153], s[28:29], -v[247:248]
	v_add_f64_e32 v[24:25], v[26:27], v[24:25]
	v_fma_f64 v[26:27], v[160:161], s[20:21], v[245:246]
	s_delay_alu instid0(VALU_DEP_4) | instskip(SKIP_2) | instid1(VALU_DEP_4)
	v_add_f64_e32 v[28:29], v[235:236], v[28:29]
	v_fma_f64 v[235:236], v[176:177], s[26:27], v[251:252]
	v_mul_f64_e32 v[251:252], s[10:11], v[162:163]
	v_add_f64_e32 v[24:25], v[26:27], v[24:25]
	v_fma_f64 v[26:27], v[164:165], s[16:17], v[249:250]
	v_mul_f64_e32 v[249:250], s[24:25], v[158:159]
	v_add_f64_e32 v[2:3], v[235:236], v[2:3]
	v_fma_f64 v[235:236], v[168:169], s[26:27], -v[253:254]
	s_delay_alu instid0(VALU_DEP_4)
	v_add_f64_e32 v[24:25], v[26:27], v[24:25]
	v_fma_f64 v[26:27], v[168:169], s[26:27], v[253:254]
	v_mul_f64_e32 v[253:254], s[50:51], v[166:167]
	v_add_f64_e32 v[2:3], v[34:35], v[2:3]
	v_mul_f64_e32 v[34:35], s[36:37], v[182:183]
	v_add_f64_e32 v[28:29], v[235:236], v[28:29]
	v_add_f64_e32 v[24:25], v[26:27], v[24:25]
	s_delay_alu instid0(VALU_DEP_4) | instskip(NEXT) | instid1(VALU_DEP_4)
	v_add_f64_e32 v[237:238], v[38:39], v[2:3]
	v_fma_f64 v[26:27], v[180:181], s[28:29], v[34:35]
	v_mul_f64_e32 v[2:3], s[18:19], v[190:191]
	v_fma_f64 v[235:236], v[180:181], s[28:29], -v[34:35]
	s_delay_alu instid0(VALU_DEP_3) | instskip(SKIP_1) | instid1(VALU_DEP_4)
	v_add_f64_e32 v[24:25], v[26:27], v[24:25]
	v_fma_f64 v[26:27], v[192:193], s[6:7], -v[36:37]
	v_fma_f64 v[38:39], v[188:189], s[6:7], -v[2:3]
	v_fma_f64 v[2:3], v[188:189], s[6:7], v[2:3]
	v_add_f64_e32 v[28:29], v[235:236], v[28:29]
	s_delay_alu instid0(VALU_DEP_4) | instskip(SKIP_1) | instid1(VALU_DEP_4)
	v_add_f64_e32 v[241:242], v[26:27], v[0:1]
	v_mul_f64_e32 v[0:1], s[44:45], v[213:214]
	v_add_f64_e32 v[239:240], v[2:3], v[24:25]
	v_mul_f64_e32 v[24:25], s[36:37], v[206:207]
	v_add_f64_e32 v[235:236], v[38:39], v[28:29]
	s_delay_alu instid0(VALU_DEP_4) | instskip(SKIP_1) | instid1(VALU_DEP_4)
	v_fma_f64 v[2:3], v[211:212], s[16:17], v[0:1]
	v_fma_f64 v[0:1], v[211:212], s[16:17], -v[0:1]
	v_fma_f64 v[26:27], v[204:205], s[28:29], v[24:25]
	v_fma_f64 v[24:25], v[204:205], s[28:29], -v[24:25]
	s_delay_alu instid0(VALU_DEP_4) | instskip(NEXT) | instid1(VALU_DEP_4)
	v_add_f64_e32 v[2:3], v[146:147], v[2:3]
	v_add_f64_e32 v[0:1], v[146:147], v[0:1]
	s_delay_alu instid0(VALU_DEP_2) | instskip(SKIP_1) | instid1(VALU_DEP_3)
	v_add_f64_e32 v[2:3], v[26:27], v[2:3]
	v_mul_f64_e32 v[26:27], s[24:25], v[202:203]
	v_add_f64_e32 v[0:1], v[24:25], v[0:1]
	s_delay_alu instid0(VALU_DEP_2) | instskip(SKIP_2) | instid1(VALU_DEP_3)
	v_fma_f64 v[28:29], v[200:201], s[14:15], v[26:27]
	v_fma_f64 v[24:25], v[200:201], s[14:15], -v[26:27]
	v_fma_f64 v[26:27], v[152:153], s[28:29], v[247:248]
	v_add_f64_e32 v[2:3], v[28:29], v[2:3]
	v_mul_f64_e32 v[28:29], s[10:11], v[198:199]
	s_delay_alu instid0(VALU_DEP_4) | instskip(NEXT) | instid1(VALU_DEP_2)
	v_add_f64_e32 v[0:1], v[24:25], v[0:1]
	v_fma_f64 v[30:31], v[196:197], s[4:5], v[28:29]
	v_fma_f64 v[24:25], v[196:197], s[4:5], -v[28:29]
	v_mul_f64_e32 v[28:29], s[44:45], v[206:207]
	s_delay_alu instid0(VALU_DEP_3) | instskip(SKIP_1) | instid1(VALU_DEP_4)
	v_add_f64_e32 v[2:3], v[30:31], v[2:3]
	v_mul_f64_e32 v[30:31], s[50:51], v[174:175]
	v_add_f64_e32 v[0:1], v[24:25], v[0:1]
	s_delay_alu instid0(VALU_DEP_2) | instskip(SKIP_2) | instid1(VALU_DEP_3)
	v_fma_f64 v[32:33], v[172:173], s[6:7], v[30:31]
	v_fma_f64 v[24:25], v[172:173], s[6:7], -v[30:31]
	v_fma_f64 v[30:31], v[204:205], s[16:17], -v[28:29]
	v_add_f64_e32 v[2:3], v[32:33], v[2:3]
	v_mul_f64_e32 v[32:33], s[46:47], v[178:179]
	s_delay_alu instid0(VALU_DEP_4) | instskip(NEXT) | instid1(VALU_DEP_2)
	v_add_f64_e32 v[0:1], v[24:25], v[0:1]
	v_fma_f64 v[34:35], v[176:177], s[20:21], v[32:33]
	v_fma_f64 v[24:25], v[176:177], s[20:21], -v[32:33]
	s_delay_alu instid0(VALU_DEP_2) | instskip(SKIP_1) | instid1(VALU_DEP_3)
	v_add_f64_e32 v[2:3], v[34:35], v[2:3]
	v_mul_f64_e32 v[34:35], s[38:39], v[186:187]
	v_add_f64_e32 v[0:1], v[24:25], v[0:1]
	s_delay_alu instid0(VALU_DEP_2) | instskip(SKIP_1) | instid1(VALU_DEP_2)
	v_fma_f64 v[36:37], v[184:185], s[22:23], v[34:35]
	v_fma_f64 v[24:25], v[184:185], s[22:23], -v[34:35]
	v_add_f64_e32 v[2:3], v[36:37], v[2:3]
	v_mul_f64_e32 v[36:37], s[44:45], v[215:216]
	s_delay_alu instid0(VALU_DEP_3) | instskip(NEXT) | instid1(VALU_DEP_3)
	v_add_f64_e32 v[0:1], v[24:25], v[0:1]
	v_add_f64_e32 v[245:246], v[46:47], v[2:3]
	s_delay_alu instid0(VALU_DEP_3) | instskip(SKIP_2) | instid1(VALU_DEP_3)
	v_fma_f64 v[38:39], v[208:209], s[16:17], -v[36:37]
	v_fma_f64 v[24:25], v[208:209], s[16:17], v[36:37]
	v_mul_f64_e32 v[2:3], s[34:35], v[190:191]
	v_add_f64_e32 v[38:39], v[144:145], v[38:39]
	s_delay_alu instid0(VALU_DEP_3) | instskip(NEXT) | instid1(VALU_DEP_3)
	v_add_f64_e32 v[24:25], v[144:145], v[24:25]
	v_fma_f64 v[46:47], v[188:189], s[26:27], -v[2:3]
	v_fma_f64 v[2:3], v[188:189], s[26:27], v[2:3]
	s_delay_alu instid0(VALU_DEP_4) | instskip(SKIP_3) | instid1(VALU_DEP_3)
	v_add_f64_e32 v[38:39], v[243:244], v[38:39]
	v_fma_f64 v[243:244], v[156:157], s[14:15], -v[249:250]
	v_add_f64_e32 v[24:25], v[26:27], v[24:25]
	v_fma_f64 v[26:27], v[156:157], s[14:15], v[249:250]
	v_add_f64_e32 v[38:39], v[243:244], v[38:39]
	v_fma_f64 v[243:244], v[160:161], s[4:5], -v[251:252]
	s_delay_alu instid0(VALU_DEP_3) | instskip(SKIP_1) | instid1(VALU_DEP_3)
	v_add_f64_e32 v[24:25], v[26:27], v[24:25]
	v_fma_f64 v[26:27], v[160:161], s[4:5], v[251:252]
	v_add_f64_e32 v[38:39], v[243:244], v[38:39]
	v_fma_f64 v[243:244], v[164:165], s[6:7], -v[253:254]
	s_delay_alu instid0(VALU_DEP_3) | instskip(SKIP_1) | instid1(VALU_DEP_3)
	v_add_f64_e32 v[24:25], v[26:27], v[24:25]
	v_fma_f64 v[26:27], v[164:165], s[6:7], v[253:254]
	v_add_f64_e32 v[38:39], v[243:244], v[38:39]
	s_delay_alu instid0(VALU_DEP_2) | instskip(SKIP_1) | instid1(VALU_DEP_3)
	v_add_f64_e32 v[24:25], v[26:27], v[24:25]
	v_fma_f64 v[26:27], v[168:169], s[20:21], v[40:41]
	v_add_f64_e32 v[38:39], v[42:43], v[38:39]
	v_mul_f64_e32 v[42:43], s[38:39], v[182:183]
	s_delay_alu instid0(VALU_DEP_3) | instskip(NEXT) | instid1(VALU_DEP_2)
	v_add_f64_e32 v[24:25], v[26:27], v[24:25]
	v_fma_f64 v[26:27], v[180:181], s[22:23], v[42:43]
	v_fma_f64 v[243:244], v[180:181], s[22:23], -v[42:43]
	s_delay_alu instid0(VALU_DEP_2) | instskip(SKIP_1) | instid1(VALU_DEP_3)
	v_add_f64_e32 v[24:25], v[26:27], v[24:25]
	v_fma_f64 v[26:27], v[192:193], s[26:27], -v[44:45]
	v_add_f64_e32 v[38:39], v[243:244], v[38:39]
	s_delay_alu instid0(VALU_DEP_3) | instskip(NEXT) | instid1(VALU_DEP_3)
	v_add_f64_e32 v[247:248], v[2:3], v[24:25]
	v_add_f64_e32 v[249:250], v[26:27], v[0:1]
	v_mul_f64_e32 v[0:1], s[40:41], v[213:214]
	s_delay_alu instid0(VALU_DEP_4) | instskip(SKIP_1) | instid1(VALU_DEP_3)
	v_add_f64_e32 v[243:244], v[46:47], v[38:39]
	v_mul_f64_e32 v[24:25], s[40:41], v[215:216]
	v_fma_f64 v[2:3], v[211:212], s[26:27], v[0:1]
	v_fma_f64 v[0:1], v[211:212], s[26:27], -v[0:1]
	s_delay_alu instid0(VALU_DEP_3) | instskip(SKIP_1) | instid1(VALU_DEP_4)
	v_fma_f64 v[26:27], v[208:209], s[26:27], -v[24:25]
	v_fma_f64 v[24:25], v[208:209], s[26:27], v[24:25]
	v_add_f64_e32 v[2:3], v[146:147], v[2:3]
	s_delay_alu instid0(VALU_DEP_4) | instskip(NEXT) | instid1(VALU_DEP_4)
	v_add_f64_e32 v[0:1], v[146:147], v[0:1]
	v_add_f64_e32 v[26:27], v[144:145], v[26:27]
	s_delay_alu instid0(VALU_DEP_4) | instskip(NEXT) | instid1(VALU_DEP_3)
	v_add_f64_e32 v[24:25], v[144:145], v[24:25]
	v_add_f64_e32 v[0:1], v[30:31], v[0:1]
	v_mul_f64_e32 v[30:31], s[48:49], v[202:203]
	s_delay_alu instid0(VALU_DEP_1) | instskip(NEXT) | instid1(VALU_DEP_1)
	v_fma_f64 v[32:33], v[200:201], s[22:23], -v[30:31]
	v_add_f64_e32 v[0:1], v[32:33], v[0:1]
	v_mul_f64_e32 v[32:33], s[36:37], v[198:199]
	s_delay_alu instid0(VALU_DEP_1) | instskip(NEXT) | instid1(VALU_DEP_1)
	v_fma_f64 v[34:35], v[196:197], s[28:29], -v[32:33]
	;; [unrolled: 4-line block ×5, first 2 shown]
	v_add_f64_e32 v[0:1], v[40:41], v[0:1]
	v_mul_f64_e32 v[40:41], s[44:45], v[154:155]
	v_mul_f64_e32 v[154:155], s[24:25], v[170:171]
	s_delay_alu instid0(VALU_DEP_2) | instskip(NEXT) | instid1(VALU_DEP_1)
	v_fma_f64 v[42:43], v[152:153], s[16:17], v[40:41]
	v_add_f64_e32 v[24:25], v[42:43], v[24:25]
	v_mul_f64_e32 v[42:43], s[48:49], v[158:159]
	v_mul_f64_e32 v[158:159], s[18:19], v[182:183]
	s_delay_alu instid0(VALU_DEP_2) | instskip(NEXT) | instid1(VALU_DEP_1)
	v_fma_f64 v[44:45], v[156:157], s[22:23], v[42:43]
	;; [unrolled: 5-line block ×4, first 2 shown]
	v_add_f64_e32 v[24:25], v[144:145], v[24:25]
	v_fma_f64 v[144:145], v[168:169], s[14:15], v[154:155]
	s_delay_alu instid0(VALU_DEP_1) | instskip(SKIP_1) | instid1(VALU_DEP_1)
	v_add_f64_e32 v[24:25], v[144:145], v[24:25]
	v_fma_f64 v[144:145], v[180:181], s[6:7], v[158:159]
	v_add_f64_e32 v[24:25], v[144:145], v[24:25]
	v_fma_f64 v[144:145], v[192:193], s[4:5], -v[162:163]
	s_delay_alu instid0(VALU_DEP_1) | instskip(SKIP_1) | instid1(VALU_DEP_1)
	v_add_f64_e32 v[146:147], v[144:145], v[0:1]
	v_fma_f64 v[0:1], v[188:189], s[4:5], v[166:167]
	v_add_f64_e32 v[144:145], v[0:1], v[24:25]
	v_fma_f64 v[0:1], v[204:205], s[16:17], v[28:29]
	v_fma_f64 v[24:25], v[152:153], s[16:17], -v[40:41]
	v_fma_f64 v[28:29], v[200:201], s[22:23], v[30:31]
	s_delay_alu instid0(VALU_DEP_3) | instskip(SKIP_1) | instid1(VALU_DEP_4)
	v_add_f64_e32 v[0:1], v[0:1], v[2:3]
	v_fma_f64 v[2:3], v[156:157], s[22:23], -v[42:43]
	v_add_f64_e32 v[24:25], v[24:25], v[26:27]
	v_fma_f64 v[26:27], v[196:197], s[28:29], v[32:33]
	s_delay_alu instid0(VALU_DEP_4) | instskip(SKIP_1) | instid1(VALU_DEP_4)
	v_add_f64_e32 v[0:1], v[28:29], v[0:1]
	v_fma_f64 v[28:29], v[160:161], s[28:29], -v[44:45]
	v_add_f64_e32 v[2:3], v[2:3], v[24:25]
	v_fma_f64 v[24:25], v[172:173], s[20:21], v[34:35]
	s_delay_alu instid0(VALU_DEP_4) | instskip(SKIP_1) | instid1(VALU_DEP_4)
	;; [unrolled: 5-line block ×5, first 2 shown]
	v_add_f64_e32 v[0:1], v[26:27], v[0:1]
	v_fma_f64 v[26:27], v[188:189], s[4:5], -v[166:167]
	v_add_f64_e32 v[2:3], v[28:29], v[2:3]
	s_delay_alu instid0(VALU_DEP_3) | instskip(SKIP_1) | instid1(VALU_DEP_3)
	v_add_f64_e32 v[154:155], v[24:25], v[0:1]
	v_mul_lo_u16 v0, v210, 17
	v_add_f64_e32 v[152:153], v[26:27], v[2:3]
	scratch_load_b128 v[24:27], off, off offset:8 th:TH_LOAD_LU ; 16-byte Folded Reload
	v_and_b32_e32 v0, 0xffff, v0
	s_delay_alu instid0(VALU_DEP_1)
	v_lshlrev_b32_e32 v0, 4, v0
	s_wait_loadcnt 0x0
	ds_store_b128 v0, v[24:27]
	ds_store_b128 v0, v[144:147] offset:16
	ds_store_b128 v0, v[247:250] offset:32
	;; [unrolled: 1-line block ×16, first 2 shown]
.LBB0_13:
	s_or_b32 exec_lo, exec_lo, s33
	global_wb scope:SCOPE_SE
	s_wait_storecnt_dscnt 0x0
	s_barrier_signal -1
	s_barrier_wait -1
	global_inv scope:SCOPE_SE
	ds_load_b128 v[0:3], v217 offset:9792
	ds_load_b128 v[4:7], v217 offset:19584
	;; [unrolled: 1-line block ×8, first 2 shown]
	s_clause 0x2
	scratch_load_b128 v[162:165], off, off offset:104 th:TH_LOAD_LU
	scratch_load_b128 v[158:161], off, off offset:88 th:TH_LOAD_LU
	;; [unrolled: 1-line block ×3, first 2 shown]
	s_mov_b32 s6, 0xe8584caa
	s_mov_b32 s7, 0xbfebb67a
	;; [unrolled: 1-line block ×3, first 2 shown]
	s_wait_alu 0xfffe
	s_mov_b32 s4, s6
	s_wait_dscnt 0x1
	v_mul_f64_e32 v[152:153], v[50:51], v[146:147]
	v_mul_f64_e32 v[50:51], v[50:51], v[144:145]
	s_wait_loadcnt 0x2
	v_mul_f64_e32 v[28:29], v[164:165], v[6:7]
	v_mul_f64_e32 v[30:31], v[164:165], v[4:5]
	scratch_load_b128 v[164:167], off, off offset:120 th:TH_LOAD_LU ; 16-byte Folded Reload
	s_wait_loadcnt 0x1
	v_mul_f64_e32 v[24:25], v[172:173], v[2:3]
	v_mul_f64_e32 v[26:27], v[172:173], v[0:1]
	scratch_load_b128 v[172:175], off, off offset:168 th:TH_LOAD_LU ; 16-byte Folded Reload
	v_mul_f64_e32 v[44:45], v[160:161], v[22:23]
	v_mul_f64_e32 v[46:47], v[160:161], v[20:21]
	v_fma_f64 v[28:29], v[162:163], v[4:5], v[28:29]
	v_fma_f64 v[30:31], v[162:163], v[6:7], -v[30:31]
	ds_load_b128 v[4:7], v217 offset:2448
	v_fma_f64 v[24:25], v[170:171], v[0:1], v[24:25]
	v_fma_f64 v[26:27], v[170:171], v[2:3], -v[26:27]
	ds_load_b128 v[0:3], v217
	v_fma_f64 v[20:21], v[158:159], v[20:21], v[44:45]
	v_fma_f64 v[22:23], v[158:159], v[22:23], -v[46:47]
	v_add_f64_e64 v[158:159], v[26:27], -v[30:31]
	s_wait_loadcnt 0x1
	v_mul_f64_e32 v[36:37], v[166:167], v[14:15]
	v_mul_f64_e32 v[38:39], v[166:167], v[12:13]
	scratch_load_b128 v[166:169], off, off offset:136 th:TH_LOAD_LU ; 16-byte Folded Reload
	s_wait_loadcnt 0x1
	v_mul_f64_e32 v[32:33], v[174:175], v[10:11]
	v_mul_f64_e32 v[34:35], v[174:175], v[8:9]
	scratch_load_b128 v[174:177], off, off offset:184 th:TH_LOAD_LU ; 16-byte Folded Reload
	v_fma_f64 v[36:37], v[164:165], v[12:13], v[36:37]
	v_fma_f64 v[38:39], v[164:165], v[14:15], -v[38:39]
	v_fma_f64 v[32:33], v[172:173], v[8:9], v[32:33]
	v_fma_f64 v[34:35], v[172:173], v[10:11], -v[34:35]
	ds_load_b128 v[8:11], v217 offset:4896
	ds_load_b128 v[12:15], v217 offset:7344
	global_wb scope:SCOPE_SE
	s_wait_loadcnt_dscnt 0x0
	s_barrier_signal -1
	s_barrier_wait -1
	global_inv scope:SCOPE_SE
	v_add_f64_e32 v[160:161], v[4:5], v[32:33]
	v_add_f64_e32 v[162:163], v[6:7], v[34:35]
	v_mul_f64_e32 v[40:41], v[168:169], v[18:19]
	v_mul_f64_e32 v[42:43], v[168:169], v[16:17]
	;; [unrolled: 1-line block ×4, first 2 shown]
	s_delay_alu instid0(VALU_DEP_4) | instskip(NEXT) | instid1(VALU_DEP_4)
	v_fma_f64 v[16:17], v[166:167], v[16:17], v[40:41]
	v_fma_f64 v[18:19], v[166:167], v[18:19], -v[42:43]
	v_fma_f64 v[40:41], v[48:49], v[144:145], v[152:153]
	v_fma_f64 v[42:43], v[48:49], v[146:147], -v[50:51]
	v_add_f64_e32 v[48:49], v[24:25], v[28:29]
	v_fma_f64 v[44:45], v[174:175], v[148:149], v[154:155]
	v_fma_f64 v[46:47], v[174:175], v[150:151], -v[156:157]
	v_add_f64_e32 v[50:51], v[26:27], v[30:31]
	v_add_f64_e32 v[156:157], v[0:1], v[24:25]
	;; [unrolled: 1-line block ×3, first 2 shown]
	v_add_f64_e64 v[24:25], v[24:25], -v[28:29]
	v_add_f64_e32 v[144:145], v[32:33], v[36:37]
	v_add_f64_e32 v[146:147], v[34:35], v[38:39]
	v_add_f64_e64 v[34:35], v[34:35], -v[38:39]
	v_add_f64_e64 v[32:33], v[32:33], -v[36:37]
	v_add_f64_e32 v[148:149], v[16:17], v[20:21]
	v_add_f64_e32 v[164:165], v[8:9], v[16:17]
	v_add_f64_e64 v[174:175], v[16:17], -v[20:21]
	v_add_f64_e32 v[150:151], v[18:19], v[22:23]
	v_fma_f64 v[48:49], v[48:49], -0.5, v[0:1]
	v_add_f64_e32 v[166:167], v[10:11], v[18:19]
	v_add_f64_e64 v[172:173], v[18:19], -v[22:23]
	v_fma_f64 v[50:51], v[50:51], -0.5, v[2:3]
	v_add_f64_e32 v[0:1], v[156:157], v[28:29]
	v_add_f64_e32 v[2:3], v[26:27], v[30:31]
	v_add_f64_e32 v[152:153], v[40:41], v[44:45]
	v_fma_f64 v[144:145], v[144:145], -0.5, v[4:5]
	v_fma_f64 v[146:147], v[146:147], -0.5, v[6:7]
	v_add_f64_e32 v[4:5], v[160:161], v[36:37]
	v_add_f64_e32 v[6:7], v[162:163], v[38:39]
	v_add_f64_e32 v[154:155], v[42:43], v[46:47]
	v_add_f64_e32 v[168:169], v[12:13], v[40:41]
	v_add_f64_e32 v[170:171], v[14:15], v[42:43]
	v_add_f64_e64 v[42:43], v[42:43], -v[46:47]
	v_add_f64_e64 v[176:177], v[40:41], -v[44:45]
	v_fma_f64 v[148:149], v[148:149], -0.5, v[8:9]
	v_add_f64_e32 v[8:9], v[164:165], v[20:21]
	v_fma_f64 v[150:151], v[150:151], -0.5, v[10:11]
	v_fma_f64 v[16:17], v[158:159], s[6:7], v[48:49]
	s_wait_alu 0xfffe
	v_fma_f64 v[20:21], v[158:159], s[4:5], v[48:49]
	scratch_load_b32 v48, off, off offset:256 th:TH_LOAD_LU ; 4-byte Folded Reload
	v_fma_f64 v[18:19], v[24:25], s[4:5], v[50:51]
	v_add_f64_e32 v[10:11], v[166:167], v[22:23]
	v_fma_f64 v[22:23], v[24:25], s[6:7], v[50:51]
	v_fma_f64 v[152:153], v[152:153], -0.5, v[12:13]
	v_fma_f64 v[24:25], v[34:35], s[6:7], v[144:145]
	v_fma_f64 v[26:27], v[32:33], s[4:5], v[146:147]
	;; [unrolled: 1-line block ×4, first 2 shown]
	v_fma_f64 v[154:155], v[154:155], -0.5, v[14:15]
	v_add_f64_e32 v[12:13], v[168:169], v[44:45]
	v_add_f64_e32 v[14:15], v[170:171], v[46:47]
	s_wait_loadcnt 0x0
	ds_store_b128 v48, v[0:3]
	ds_store_b128 v48, v[16:19] offset:272
	ds_store_b128 v48, v[20:23] offset:544
	scratch_load_b32 v0, off, off offset:248 th:TH_LOAD_LU ; 4-byte Folded Reload
	v_fma_f64 v[32:33], v[172:173], s[6:7], v[148:149]
	v_fma_f64 v[34:35], v[174:175], s[4:5], v[150:151]
	;; [unrolled: 1-line block ×8, first 2 shown]
	s_wait_loadcnt 0x0
	ds_store_b128 v0, v[4:7]
	ds_store_b128 v0, v[24:27] offset:272
	ds_store_b128 v0, v[28:31] offset:544
	scratch_load_b32 v0, off, off offset:240 th:TH_LOAD_LU ; 4-byte Folded Reload
	s_wait_loadcnt 0x0
	ds_store_b128 v0, v[8:11]
	ds_store_b128 v0, v[32:35] offset:272
	ds_store_b128 v0, v[36:39] offset:544
	scratch_load_b32 v0, off, off offset:232 th:TH_LOAD_LU ; 4-byte Folded Reload
	s_wait_loadcnt 0x0
	ds_store_b128 v0, v[12:15]
	ds_store_b128 v0, v[40:43] offset:272
	ds_store_b128 v0, v[44:47] offset:544
	global_wb scope:SCOPE_SE
	s_wait_dscnt 0x0
	s_barrier_signal -1
	s_barrier_wait -1
	global_inv scope:SCOPE_SE
	ds_load_b128 v[0:3], v217 offset:9792
	ds_load_b128 v[4:7], v217 offset:19584
	;; [unrolled: 1-line block ×8, first 2 shown]
	s_wait_dscnt 0x7
	v_mul_f64_e32 v[32:33], v[70:71], v[2:3]
	s_wait_dscnt 0x6
	v_mul_f64_e32 v[36:37], v[54:55], v[6:7]
	v_mul_f64_e32 v[34:35], v[70:71], v[0:1]
	;; [unrolled: 1-line block ×3, first 2 shown]
	s_wait_dscnt 0x3
	v_mul_f64_e32 v[48:49], v[66:67], v[18:19]
	s_wait_dscnt 0x2
	v_mul_f64_e32 v[54:55], v[62:63], v[22:23]
	v_mul_f64_e32 v[40:41], v[74:75], v[10:11]
	;; [unrolled: 1-line block ×7, first 2 shown]
	s_wait_dscnt 0x1
	v_mul_f64_e32 v[66:67], v[82:83], v[24:25]
	v_mul_f64_e32 v[62:63], v[82:83], v[26:27]
	s_wait_dscnt 0x0
	v_mul_f64_e32 v[74:75], v[78:79], v[28:29]
	v_mul_f64_e32 v[70:71], v[78:79], v[30:31]
	v_fma_f64 v[32:33], v[68:69], v[0:1], v[32:33]
	v_fma_f64 v[36:37], v[52:53], v[4:5], v[36:37]
	v_fma_f64 v[34:35], v[68:69], v[2:3], -v[34:35]
	v_fma_f64 v[38:39], v[52:53], v[6:7], -v[38:39]
	v_fma_f64 v[16:17], v[64:65], v[16:17], v[48:49]
	v_fma_f64 v[20:21], v[60:61], v[20:21], v[54:55]
	ds_load_b128 v[0:3], v217
	ds_load_b128 v[4:7], v217 offset:2448
	v_fma_f64 v[40:41], v[72:73], v[8:9], v[40:41]
	v_fma_f64 v[42:43], v[72:73], v[10:11], -v[42:43]
	v_fma_f64 v[44:45], v[56:57], v[12:13], v[44:45]
	v_fma_f64 v[46:47], v[56:57], v[14:15], -v[46:47]
	ds_load_b128 v[8:11], v217 offset:4896
	ds_load_b128 v[12:15], v217 offset:7344
	v_fma_f64 v[26:27], v[80:81], v[26:27], -v[66:67]
	global_wb scope:SCOPE_SE
	s_wait_dscnt 0x0
	s_barrier_signal -1
	s_barrier_wait -1
	global_inv scope:SCOPE_SE
	v_fma_f64 v[18:19], v[64:65], v[18:19], -v[50:51]
	v_fma_f64 v[22:23], v[60:61], v[22:23], -v[58:59]
	;; [unrolled: 1-line block ×3, first 2 shown]
	v_fma_f64 v[24:25], v[80:81], v[24:25], v[62:63]
	v_fma_f64 v[28:29], v[76:77], v[28:29], v[70:71]
	v_add_f64_e32 v[64:65], v[0:1], v[32:33]
	v_add_f64_e32 v[48:49], v[32:33], v[36:37]
	v_add_f64_e64 v[32:33], v[32:33], -v[36:37]
	v_add_f64_e64 v[66:67], v[34:35], -v[38:39]
	v_add_f64_e32 v[72:73], v[8:9], v[16:17]
	v_add_f64_e32 v[56:57], v[16:17], v[20:21]
	v_add_f64_e64 v[82:83], v[16:17], -v[20:21]
	v_add_f64_e32 v[50:51], v[34:35], v[38:39]
	v_add_f64_e32 v[34:35], v[2:3], v[34:35]
	;; [unrolled: 1-line block ×6, first 2 shown]
	v_add_f64_e64 v[42:43], v[42:43], -v[46:47]
	v_add_f64_e64 v[40:41], v[40:41], -v[44:45]
	v_add_f64_e32 v[78:79], v[14:15], v[26:27]
	v_add_f64_e32 v[74:75], v[10:11], v[18:19]
	;; [unrolled: 1-line block ×3, first 2 shown]
	v_add_f64_e64 v[80:81], v[18:19], -v[22:23]
	v_add_f64_e32 v[62:63], v[26:27], v[30:31]
	v_add_f64_e32 v[60:61], v[24:25], v[28:29]
	;; [unrolled: 1-line block ×3, first 2 shown]
	v_add_f64_e64 v[144:145], v[26:27], -v[30:31]
	v_add_f64_e64 v[146:147], v[24:25], -v[28:29]
	v_fma_f64 v[48:49], v[48:49], -0.5, v[0:1]
	v_add_f64_e32 v[0:1], v[64:65], v[36:37]
	v_fma_f64 v[56:57], v[56:57], -0.5, v[8:9]
	v_add_f64_e32 v[8:9], v[72:73], v[20:21]
	;; [unrolled: 2-line block ×3, first 2 shown]
	v_fma_f64 v[52:53], v[52:53], -0.5, v[4:5]
	v_fma_f64 v[54:55], v[54:55], -0.5, v[6:7]
	v_add_f64_e32 v[4:5], v[68:69], v[44:45]
	v_add_f64_e32 v[6:7], v[70:71], v[46:47]
	v_fma_f64 v[58:59], v[58:59], -0.5, v[10:11]
	v_add_f64_e32 v[10:11], v[74:75], v[22:23]
	v_fma_f64 v[62:63], v[62:63], -0.5, v[14:15]
	v_fma_f64 v[60:61], v[60:61], -0.5, v[12:13]
	v_add_f64_e32 v[12:13], v[76:77], v[28:29]
	v_add_f64_e32 v[14:15], v[78:79], v[30:31]
	v_fma_f64 v[16:17], v[66:67], s[6:7], v[48:49]
	v_fma_f64 v[20:21], v[66:67], s[4:5], v[48:49]
	scratch_load_b32 v48, off, off offset:288 th:TH_LOAD_LU ; 4-byte Folded Reload
	v_fma_f64 v[36:37], v[80:81], s[4:5], v[56:57]
	v_fma_f64 v[18:19], v[32:33], s[4:5], v[50:51]
	;; [unrolled: 1-line block ×8, first 2 shown]
	s_wait_loadcnt 0x0
	ds_store_b128 v48, v[0:3]
	ds_store_b128 v48, v[16:19] offset:816
	ds_store_b128 v48, v[20:23] offset:1632
	scratch_load_b32 v0, off, off offset:280 th:TH_LOAD_LU ; 4-byte Folded Reload
	v_fma_f64 v[34:35], v[82:83], s[4:5], v[58:59]
	v_fma_f64 v[38:39], v[82:83], s[6:7], v[58:59]
	;; [unrolled: 1-line block ×6, first 2 shown]
	s_wait_loadcnt 0x0
	ds_store_b128 v0, v[4:7]
	ds_store_b128 v0, v[24:27] offset:816
	ds_store_b128 v0, v[28:31] offset:1632
	scratch_load_b32 v0, off, off offset:272 th:TH_LOAD_LU ; 4-byte Folded Reload
	s_wait_loadcnt 0x0
	ds_store_b128 v0, v[8:11]
	ds_store_b128 v0, v[32:35] offset:816
	ds_store_b128 v0, v[36:39] offset:1632
	scratch_load_b32 v0, off, off offset:264 th:TH_LOAD_LU ; 4-byte Folded Reload
	s_wait_loadcnt 0x0
	ds_store_b128 v0, v[12:15]
	ds_store_b128 v0, v[40:43] offset:816
	ds_store_b128 v0, v[44:47] offset:1632
	global_wb scope:SCOPE_SE
	s_wait_dscnt 0x0
	s_barrier_signal -1
	s_barrier_wait -1
	global_inv scope:SCOPE_SE
	ds_load_b128 v[0:3], v217 offset:14688
	ds_load_b128 v[4:7], v217 offset:17136
	;; [unrolled: 1-line block ×6, first 2 shown]
	s_wait_dscnt 0x5
	v_mul_f64_e32 v[24:25], v[94:95], v[2:3]
	v_mul_f64_e32 v[26:27], v[94:95], v[0:1]
	s_wait_dscnt 0x4
	v_mul_f64_e32 v[28:29], v[94:95], v[6:7]
	v_mul_f64_e32 v[30:31], v[94:95], v[4:5]
	;; [unrolled: 3-line block ×6, first 2 shown]
	v_fma_f64 v[24:25], v[92:93], v[0:1], v[24:25]
	v_fma_f64 v[26:27], v[92:93], v[2:3], -v[26:27]
	v_fma_f64 v[28:29], v[92:93], v[4:5], v[28:29]
	v_fma_f64 v[30:31], v[92:93], v[6:7], -v[30:31]
	;; [unrolled: 2-line block ×6, first 2 shown]
	ds_load_b128 v[0:3], v217
	ds_load_b128 v[4:7], v217 offset:2448
	ds_load_b128 v[8:11], v217 offset:4896
	;; [unrolled: 1-line block ×5, first 2 shown]
	global_wb scope:SCOPE_SE
	s_wait_dscnt 0x0
	s_barrier_signal -1
	s_barrier_wait -1
	global_inv scope:SCOPE_SE
	v_add_f64_e64 v[24:25], v[0:1], -v[24:25]
	v_add_f64_e64 v[26:27], v[2:3], -v[26:27]
	;; [unrolled: 1-line block ×12, first 2 shown]
	v_fma_f64 v[0:1], v[0:1], 2.0, -v[24:25]
	v_fma_f64 v[2:3], v[2:3], 2.0, -v[26:27]
	;; [unrolled: 1-line block ×11, first 2 shown]
	ds_store_b128 v217, v[0:3]
	ds_store_b128 v217, v[24:27] offset:2448
	ds_store_b128 v217, v[4:7] offset:4896
	;; [unrolled: 1-line block ×3, first 2 shown]
	scratch_load_b32 v0, off, off offset:208 th:TH_LOAD_LU ; 4-byte Folded Reload
	v_fma_f64 v[22:23], v[22:23], 2.0, -v[46:47]
	s_wait_loadcnt 0x0
	ds_store_b128 v0, v[8:11] offset:9792
	ds_store_b128 v0, v[32:35] offset:12240
	scratch_load_b32 v0, off, off offset:224 th:TH_LOAD_LU ; 4-byte Folded Reload
	s_wait_loadcnt 0x0
	ds_store_b128 v0, v[12:15] offset:14688
	ds_store_b128 v0, v[36:39] offset:17136
	scratch_load_b32 v0, off, off offset:216 th:TH_LOAD_LU ; 4-byte Folded Reload
	;; [unrolled: 4-line block ×3, first 2 shown]
	s_wait_loadcnt 0x0
	ds_store_b128 v0, v[20:23] offset:24480
	ds_store_b128 v0, v[44:47] offset:26928
	global_wb scope:SCOPE_SE
	s_wait_dscnt 0x0
	s_barrier_signal -1
	s_barrier_wait -1
	global_inv scope:SCOPE_SE
	ds_load_b128 v[0:3], v217 offset:14688
	ds_load_b128 v[4:7], v217 offset:24480
	;; [unrolled: 1-line block ×6, first 2 shown]
	s_wait_dscnt 0x5
	v_mul_f64_e32 v[24:25], v[110:111], v[0:1]
	s_wait_dscnt 0x4
	v_mul_f64_e32 v[26:27], v[138:139], v[4:5]
	;; [unrolled: 2-line block ×5, first 2 shown]
	v_mul_f64_e32 v[42:43], v[110:111], v[2:3]
	v_mul_f64_e32 v[44:45], v[138:139], v[6:7]
	;; [unrolled: 1-line block ×4, first 2 shown]
	s_wait_dscnt 0x0
	v_mul_f64_e32 v[62:63], v[90:91], v[22:23]
	v_fma_f64 v[46:47], v[108:109], v[2:3], -v[24:25]
	v_fma_f64 v[48:49], v[136:137], v[6:7], -v[26:27]
	v_mul_f64_e32 v[2:3], v[90:91], v[20:21]
	v_mul_f64_e32 v[6:7], v[134:135], v[10:11]
	v_fma_f64 v[10:11], v[132:133], v[10:11], -v[28:29]
	v_fma_f64 v[14:15], v[140:141], v[14:15], -v[30:31]
	ds_load_b128 v[24:27], v217 offset:9792
	ds_load_b128 v[28:31], v217 offset:19584
	;; [unrolled: 1-line block ×4, first 2 shown]
	v_fma_f64 v[42:43], v[108:109], v[0:1], v[42:43]
	v_fma_f64 v[44:45], v[136:137], v[4:5], v[44:45]
	v_fma_f64 v[18:19], v[120:121], v[18:19], -v[40:41]
	v_fma_f64 v[12:13], v[140:141], v[12:13], v[50:51]
	v_fma_f64 v[16:17], v[120:121], v[16:17], v[52:53]
	;; [unrolled: 1-line block ×3, first 2 shown]
	s_wait_dscnt 0x3
	v_mul_f64_e32 v[54:55], v[130:131], v[26:27]
	v_mul_f64_e32 v[56:57], v[130:131], v[24:25]
	s_wait_dscnt 0x2
	v_mul_f64_e32 v[58:59], v[126:127], v[30:31]
	v_mul_f64_e32 v[60:61], v[126:127], v[28:29]
	;; [unrolled: 3-line block ×4, first 2 shown]
	v_add_f64_e32 v[0:1], v[46:47], v[48:49]
	v_fma_f64 v[22:23], v[88:89], v[22:23], -v[2:3]
	v_fma_f64 v[8:9], v[132:133], v[8:9], v[6:7]
	v_add_f64_e32 v[2:3], v[10:11], v[14:15]
	v_add_f64_e64 v[68:69], v[10:11], -v[14:15]
	v_add_f64_e32 v[6:7], v[42:43], v[44:45]
	v_add_f64_e64 v[50:51], v[42:43], -v[44:45]
	v_fma_f64 v[24:25], v[128:129], v[24:25], v[54:55]
	v_fma_f64 v[26:27], v[128:129], v[26:27], -v[56:57]
	v_fma_f64 v[28:29], v[124:125], v[28:29], v[58:59]
	v_fma_f64 v[30:31], v[124:125], v[30:31], -v[60:61]
	;; [unrolled: 2-line block ×4, first 2 shown]
	v_add_f64_e64 v[58:59], v[46:47], -v[48:49]
	v_fma_f64 v[0:1], v[0:1], -0.5, v[18:19]
	v_add_f64_e32 v[18:19], v[18:19], v[46:47]
	v_add_f64_e32 v[4:5], v[8:9], v[12:13]
	v_add_f64_e64 v[40:41], v[8:9], -v[12:13]
	v_fma_f64 v[52:53], v[2:3], -0.5, v[22:23]
	v_add_f64_e32 v[8:9], v[20:21], v[8:9]
	v_add_f64_e32 v[10:11], v[22:23], v[10:11]
	v_fma_f64 v[60:61], v[6:7], -0.5, v[16:17]
	v_add_f64_e32 v[16:17], v[16:17], v[42:43]
	v_add_f64_e32 v[54:55], v[24:25], v[28:29]
	;; [unrolled: 1-line block ×3, first 2 shown]
	v_add_f64_e64 v[74:75], v[26:27], -v[30:31]
	v_add_f64_e32 v[64:65], v[32:33], v[36:37]
	v_add_f64_e32 v[66:67], v[34:35], v[38:39]
	v_add_f64_e64 v[46:47], v[34:35], -v[38:39]
	v_fma_f64 v[62:63], v[50:51], s[4:5], v[0:1]
	v_fma_f64 v[50:51], v[50:51], s[6:7], v[0:1]
	v_fma_f64 v[70:71], v[4:5], -0.5, v[20:21]
	ds_load_b128 v[0:3], v217
	ds_load_b128 v[4:7], v217 offset:2448
	v_fma_f64 v[72:73], v[40:41], s[4:5], v[52:53]
	v_fma_f64 v[40:41], v[40:41], s[6:7], v[52:53]
	;; [unrolled: 1-line block ×4, first 2 shown]
	v_add_f64_e32 v[16:17], v[16:17], v[44:45]
	v_add_f64_e32 v[18:19], v[18:19], v[48:49]
	;; [unrolled: 1-line block ×4, first 2 shown]
	s_wait_dscnt 0x1
	v_add_f64_e32 v[52:53], v[0:1], v[24:25]
	v_add_f64_e32 v[26:27], v[2:3], v[26:27]
	s_wait_dscnt 0x0
	v_add_f64_e32 v[42:43], v[4:5], v[32:33]
	v_add_f64_e32 v[34:35], v[6:7], v[34:35]
	v_add_f64_e64 v[24:25], v[24:25], -v[28:29]
	v_fma_f64 v[0:1], v[54:55], -0.5, v[0:1]
	v_fma_f64 v[2:3], v[56:57], -0.5, v[2:3]
	v_add_f64_e64 v[32:33], v[32:33], -v[36:37]
	v_fma_f64 v[4:5], v[64:65], -0.5, v[4:5]
	v_fma_f64 v[6:7], v[66:67], -0.5, v[6:7]
	v_mul_f64_e32 v[54:55], s[6:7], v[62:63]
	v_mul_f64_e32 v[58:59], 0.5, v[62:63]
	v_mul_f64_e32 v[56:57], s[6:7], v[50:51]
	v_fma_f64 v[60:61], v[68:69], s[6:7], v[70:71]
	v_mul_f64_e32 v[50:51], -0.5, v[50:51]
	v_mul_f64_e32 v[64:65], s[6:7], v[72:73]
	v_mul_f64_e32 v[66:67], 0.5, v[72:73]
	v_fma_f64 v[62:63], v[68:69], s[4:5], v[70:71]
	v_mul_f64_e32 v[68:69], s[6:7], v[40:41]
	v_mul_f64_e32 v[40:41], -0.5, v[40:41]
	v_add_f64_e32 v[28:29], v[52:53], v[28:29]
	v_add_f64_e32 v[26:27], v[26:27], v[30:31]
	;; [unrolled: 1-line block ×4, first 2 shown]
	v_fma_f64 v[36:37], v[74:75], s[6:7], v[0:1]
	v_fma_f64 v[42:43], v[24:25], s[4:5], v[2:3]
	;; [unrolled: 1-line block ×4, first 2 shown]
	v_fma_f64 v[24:25], v[20:21], 0.5, v[54:55]
	v_fma_f64 v[52:53], v[20:21], s[4:5], v[58:59]
	v_fma_f64 v[48:49], v[22:23], -0.5, v[56:57]
	v_fma_f64 v[54:55], v[46:47], s[6:7], v[4:5]
	v_fma_f64 v[56:57], v[32:33], s[4:5], v[6:7]
	v_fma_f64 v[64:65], v[60:61], 0.5, v[64:65]
	v_fma_f64 v[60:61], v[60:61], s[4:5], v[66:67]
	v_fma_f64 v[50:51], v[22:23], s[4:5], v[50:51]
	;; [unrolled: 1-line block ×4, first 2 shown]
	v_fma_f64 v[66:67], v[62:63], -0.5, v[68:69]
	v_fma_f64 v[62:63], v[62:63], s[4:5], v[40:41]
	v_add_f64_e32 v[0:1], v[28:29], v[16:17]
	v_add_f64_e32 v[2:3], v[26:27], v[18:19]
	;; [unrolled: 1-line block ×4, first 2 shown]
	v_add_f64_e64 v[4:5], v[28:29], -v[16:17]
	v_add_f64_e64 v[6:7], v[26:27], -v[18:19]
	;; [unrolled: 1-line block ×4, first 2 shown]
	v_add_f64_e32 v[16:17], v[36:37], v[24:25]
	v_add_f64_e32 v[18:19], v[42:43], v[52:53]
	;; [unrolled: 1-line block ×3, first 2 shown]
	v_add_f64_e64 v[24:25], v[36:37], -v[24:25]
	v_add_f64_e64 v[28:29], v[38:39], -v[48:49]
	v_add_f64_e32 v[32:33], v[54:55], v[64:65]
	v_add_f64_e32 v[34:35], v[56:57], v[60:61]
	;; [unrolled: 1-line block ×3, first 2 shown]
	v_add_f64_e64 v[26:27], v[42:43], -v[52:53]
	v_add_f64_e64 v[40:41], v[54:55], -v[64:65]
	v_add_f64_e32 v[36:37], v[46:47], v[66:67]
	v_add_f64_e32 v[38:39], v[58:59], v[62:63]
	v_add_f64_e64 v[42:43], v[56:57], -v[60:61]
	v_add_f64_e64 v[30:31], v[44:45], -v[50:51]
	;; [unrolled: 1-line block ×4, first 2 shown]
	ds_store_b128 v217, v[0:3]
	ds_store_b128 v217, v[8:11] offset:2448
	ds_store_b128 v217, v[4:7] offset:14688
	;; [unrolled: 1-line block ×11, first 2 shown]
	global_wb scope:SCOPE_SE
	s_wait_dscnt 0x0
	s_barrier_signal -1
	s_barrier_wait -1
	global_inv scope:SCOPE_SE
	s_and_b32 exec_lo, exec_lo, vcc_lo
	s_cbranch_execz .LBB0_15
; %bb.14:
	global_load_b128 v[0:3], v255, s[8:9]
	ds_load_b128 v[4:7], v217
	ds_load_b128 v[8:11], v218 offset:1728
	s_mov_b32 s4, 0x672e4abd
	s_mov_b32 s5, 0x3f41d8f5
	s_wait_loadcnt_dscnt 0x1
	v_mul_f64_e32 v[12:13], v[6:7], v[2:3]
	v_mul_f64_e32 v[2:3], v[4:5], v[2:3]
	s_delay_alu instid0(VALU_DEP_2) | instskip(NEXT) | instid1(VALU_DEP_2)
	v_fma_f64 v[4:5], v[4:5], v[0:1], v[12:13]
	v_fma_f64 v[2:3], v[0:1], v[6:7], -v[2:3]
	scratch_load_b64 v[0:1], off, off th:TH_LOAD_LU ; 8-byte Folded Reload
	v_mad_co_u64_u32 v[12:13], null, s0, v210, 0
	s_wait_alu 0xfffe
	v_mul_f64_e32 v[2:3], s[4:5], v[2:3]
	s_wait_loadcnt 0x0
	v_mov_b32_e32 v14, v0
	v_mul_f64_e32 v[0:1], s[4:5], v[4:5]
	s_delay_alu instid0(VALU_DEP_4) | instskip(NEXT) | instid1(VALU_DEP_3)
	v_mov_b32_e32 v5, v13
	v_mad_co_u64_u32 v[6:7], null, s2, v14, 0
	s_delay_alu instid0(VALU_DEP_1) | instskip(NEXT) | instid1(VALU_DEP_1)
	v_mov_b32_e32 v4, v7
	v_mad_co_u64_u32 v[13:14], null, s3, v14, v[4:5]
	s_delay_alu instid0(VALU_DEP_3) | instskip(SKIP_1) | instid1(VALU_DEP_2)
	v_mad_co_u64_u32 v[4:5], null, s1, v210, v[5:6]
	s_mul_u64 s[0:1], s[0:1], 0x6c0
	v_mov_b32_e32 v7, v13
	s_delay_alu instid0(VALU_DEP_2) | instskip(NEXT) | instid1(VALU_DEP_2)
	v_mov_b32_e32 v13, v4
	v_lshlrev_b64_e32 v[4:5], 4, v[6:7]
	s_delay_alu instid0(VALU_DEP_2) | instskip(NEXT) | instid1(VALU_DEP_2)
	v_lshlrev_b64_e32 v[6:7], 4, v[12:13]
	v_add_co_u32 v4, vcc_lo, s12, v4
	s_delay_alu instid0(VALU_DEP_3) | instskip(NEXT) | instid1(VALU_DEP_2)
	v_add_co_ci_u32_e32 v5, vcc_lo, s13, v5, vcc_lo
	v_add_co_u32 v4, vcc_lo, v4, v6
	s_wait_alu 0xfffd
	s_delay_alu instid0(VALU_DEP_2) | instskip(SKIP_1) | instid1(VALU_DEP_2)
	v_add_co_ci_u32_e32 v5, vcc_lo, v5, v7, vcc_lo
	s_wait_alu 0xfffe
	v_add_co_u32 v12, vcc_lo, v4, s0
	global_store_b128 v[4:5], v[0:3], off
	global_load_b128 v[0:3], v255, s[8:9] offset:1728
	s_wait_alu 0xfffd
	v_add_co_ci_u32_e32 v13, vcc_lo, s1, v5, vcc_lo
	s_wait_loadcnt_dscnt 0x0
	v_mul_f64_e32 v[6:7], v[10:11], v[2:3]
	v_mul_f64_e32 v[2:3], v[8:9], v[2:3]
	s_delay_alu instid0(VALU_DEP_2) | instskip(NEXT) | instid1(VALU_DEP_2)
	v_fma_f64 v[6:7], v[8:9], v[0:1], v[6:7]
	v_fma_f64 v[2:3], v[0:1], v[10:11], -v[2:3]
	s_delay_alu instid0(VALU_DEP_2) | instskip(NEXT) | instid1(VALU_DEP_2)
	v_mul_f64_e32 v[0:1], s[4:5], v[6:7]
	v_mul_f64_e32 v[2:3], s[4:5], v[2:3]
	global_store_b128 v[12:13], v[0:3], off
	global_load_b128 v[0:3], v255, s[8:9] offset:3456
	ds_load_b128 v[4:7], v218 offset:3456
	ds_load_b128 v[8:11], v218 offset:5184
	s_wait_loadcnt_dscnt 0x1
	v_mul_f64_e32 v[14:15], v[6:7], v[2:3]
	v_mul_f64_e32 v[2:3], v[4:5], v[2:3]
	s_delay_alu instid0(VALU_DEP_2) | instskip(NEXT) | instid1(VALU_DEP_2)
	v_fma_f64 v[4:5], v[4:5], v[0:1], v[14:15]
	v_fma_f64 v[2:3], v[0:1], v[6:7], -v[2:3]
	s_delay_alu instid0(VALU_DEP_2) | instskip(NEXT) | instid1(VALU_DEP_2)
	v_mul_f64_e32 v[0:1], s[4:5], v[4:5]
	v_mul_f64_e32 v[2:3], s[4:5], v[2:3]
	v_add_co_u32 v4, vcc_lo, v12, s0
	s_wait_alu 0xfffd
	v_add_co_ci_u32_e32 v5, vcc_lo, s1, v13, vcc_lo
	s_delay_alu instid0(VALU_DEP_2) | instskip(SKIP_1) | instid1(VALU_DEP_2)
	v_add_co_u32 v12, vcc_lo, v4, s0
	s_wait_alu 0xfffd
	v_add_co_ci_u32_e32 v13, vcc_lo, s1, v5, vcc_lo
	global_store_b128 v[4:5], v[0:3], off
	global_load_b128 v[0:3], v255, s[8:9] offset:5184
	s_wait_loadcnt_dscnt 0x0
	v_mul_f64_e32 v[6:7], v[10:11], v[2:3]
	v_mul_f64_e32 v[2:3], v[8:9], v[2:3]
	s_delay_alu instid0(VALU_DEP_2) | instskip(NEXT) | instid1(VALU_DEP_2)
	v_fma_f64 v[6:7], v[8:9], v[0:1], v[6:7]
	v_fma_f64 v[2:3], v[0:1], v[10:11], -v[2:3]
	s_delay_alu instid0(VALU_DEP_2) | instskip(NEXT) | instid1(VALU_DEP_2)
	v_mul_f64_e32 v[0:1], s[4:5], v[6:7]
	v_mul_f64_e32 v[2:3], s[4:5], v[2:3]
	global_store_b128 v[12:13], v[0:3], off
	global_load_b128 v[0:3], v255, s[8:9] offset:6912
	ds_load_b128 v[4:7], v218 offset:6912
	ds_load_b128 v[8:11], v218 offset:8640
	s_wait_loadcnt_dscnt 0x1
	v_mul_f64_e32 v[14:15], v[6:7], v[2:3]
	v_mul_f64_e32 v[2:3], v[4:5], v[2:3]
	s_delay_alu instid0(VALU_DEP_2) | instskip(NEXT) | instid1(VALU_DEP_2)
	v_fma_f64 v[4:5], v[4:5], v[0:1], v[14:15]
	v_fma_f64 v[2:3], v[0:1], v[6:7], -v[2:3]
	s_delay_alu instid0(VALU_DEP_2) | instskip(NEXT) | instid1(VALU_DEP_2)
	v_mul_f64_e32 v[0:1], s[4:5], v[4:5]
	v_mul_f64_e32 v[2:3], s[4:5], v[2:3]
	v_add_co_u32 v4, vcc_lo, v12, s0
	s_wait_alu 0xfffd
	v_add_co_ci_u32_e32 v5, vcc_lo, s1, v13, vcc_lo
	s_delay_alu instid0(VALU_DEP_2) | instskip(SKIP_1) | instid1(VALU_DEP_2)
	v_add_co_u32 v12, vcc_lo, v4, s0
	s_wait_alu 0xfffd
	v_add_co_ci_u32_e32 v13, vcc_lo, s1, v5, vcc_lo
	global_store_b128 v[4:5], v[0:3], off
	global_load_b128 v[0:3], v255, s[8:9] offset:8640
	;; [unrolled: 31-line block ×6, first 2 shown]
	s_wait_loadcnt_dscnt 0x0
	v_mul_f64_e32 v[6:7], v[10:11], v[2:3]
	v_mul_f64_e32 v[2:3], v[8:9], v[2:3]
	s_delay_alu instid0(VALU_DEP_2) | instskip(NEXT) | instid1(VALU_DEP_2)
	v_fma_f64 v[6:7], v[8:9], v[0:1], v[6:7]
	v_fma_f64 v[2:3], v[0:1], v[10:11], -v[2:3]
	s_delay_alu instid0(VALU_DEP_2) | instskip(NEXT) | instid1(VALU_DEP_2)
	v_mul_f64_e32 v[0:1], s[4:5], v[6:7]
	v_mul_f64_e32 v[2:3], s[4:5], v[2:3]
	global_store_b128 v[12:13], v[0:3], off
	global_load_b128 v[0:3], v255, s[8:9] offset:24192
	ds_load_b128 v[4:7], v218 offset:24192
	ds_load_b128 v[8:11], v218 offset:25920
	s_wait_loadcnt_dscnt 0x1
	v_mul_f64_e32 v[14:15], v[6:7], v[2:3]
	v_mul_f64_e32 v[2:3], v[4:5], v[2:3]
	s_delay_alu instid0(VALU_DEP_2) | instskip(NEXT) | instid1(VALU_DEP_2)
	v_fma_f64 v[4:5], v[4:5], v[0:1], v[14:15]
	v_fma_f64 v[2:3], v[0:1], v[6:7], -v[2:3]
	s_delay_alu instid0(VALU_DEP_2) | instskip(NEXT) | instid1(VALU_DEP_2)
	v_mul_f64_e32 v[0:1], s[4:5], v[4:5]
	v_mul_f64_e32 v[2:3], s[4:5], v[2:3]
	v_add_co_u32 v4, vcc_lo, v12, s0
	s_wait_alu 0xfffd
	v_add_co_ci_u32_e32 v5, vcc_lo, s1, v13, vcc_lo
	global_store_b128 v[4:5], v[0:3], off
	global_load_b128 v[0:3], v255, s[8:9] offset:25920
	s_wait_loadcnt_dscnt 0x0
	v_mul_f64_e32 v[6:7], v[10:11], v[2:3]
	v_mul_f64_e32 v[2:3], v[8:9], v[2:3]
	s_delay_alu instid0(VALU_DEP_2) | instskip(NEXT) | instid1(VALU_DEP_2)
	v_fma_f64 v[6:7], v[8:9], v[0:1], v[6:7]
	v_fma_f64 v[2:3], v[0:1], v[10:11], -v[2:3]
	v_add_co_u32 v8, vcc_lo, v4, s0
	s_wait_alu 0xfffd
	v_add_co_ci_u32_e32 v9, vcc_lo, s1, v5, vcc_lo
	s_delay_alu instid0(VALU_DEP_4) | instskip(NEXT) | instid1(VALU_DEP_4)
	v_mul_f64_e32 v[0:1], s[4:5], v[6:7]
	v_mul_f64_e32 v[2:3], s[4:5], v[2:3]
	ds_load_b128 v[4:7], v218 offset:27648
	global_store_b128 v[8:9], v[0:3], off
	global_load_b128 v[0:3], v255, s[8:9] offset:27648
	s_wait_loadcnt_dscnt 0x0
	v_mul_f64_e32 v[10:11], v[6:7], v[2:3]
	v_mul_f64_e32 v[2:3], v[4:5], v[2:3]
	s_delay_alu instid0(VALU_DEP_2) | instskip(NEXT) | instid1(VALU_DEP_2)
	v_fma_f64 v[4:5], v[4:5], v[0:1], v[10:11]
	v_fma_f64 v[2:3], v[0:1], v[6:7], -v[2:3]
	s_delay_alu instid0(VALU_DEP_2) | instskip(NEXT) | instid1(VALU_DEP_2)
	v_mul_f64_e32 v[0:1], s[4:5], v[4:5]
	v_mul_f64_e32 v[2:3], s[4:5], v[2:3]
	v_add_co_u32 v4, vcc_lo, v8, s0
	s_wait_alu 0xfffd
	v_add_co_ci_u32_e32 v5, vcc_lo, s1, v9, vcc_lo
	global_store_b128 v[4:5], v[0:3], off
.LBB0_15:
	s_endpgm
	.section	.rodata,"a",@progbits
	.p2align	6, 0x0
	.amdhsa_kernel bluestein_single_back_len1836_dim1_dp_op_CI_CI
		.amdhsa_group_segment_fixed_size 29376
		.amdhsa_private_segment_fixed_size 332
		.amdhsa_kernarg_size 104
		.amdhsa_user_sgpr_count 2
		.amdhsa_user_sgpr_dispatch_ptr 0
		.amdhsa_user_sgpr_queue_ptr 0
		.amdhsa_user_sgpr_kernarg_segment_ptr 1
		.amdhsa_user_sgpr_dispatch_id 0
		.amdhsa_user_sgpr_private_segment_size 0
		.amdhsa_wavefront_size32 1
		.amdhsa_uses_dynamic_stack 0
		.amdhsa_enable_private_segment 1
		.amdhsa_system_sgpr_workgroup_id_x 1
		.amdhsa_system_sgpr_workgroup_id_y 0
		.amdhsa_system_sgpr_workgroup_id_z 0
		.amdhsa_system_sgpr_workgroup_info 0
		.amdhsa_system_vgpr_workitem_id 0
		.amdhsa_next_free_vgpr 256
		.amdhsa_next_free_sgpr 58
		.amdhsa_reserve_vcc 1
		.amdhsa_float_round_mode_32 0
		.amdhsa_float_round_mode_16_64 0
		.amdhsa_float_denorm_mode_32 3
		.amdhsa_float_denorm_mode_16_64 3
		.amdhsa_fp16_overflow 0
		.amdhsa_workgroup_processor_mode 1
		.amdhsa_memory_ordered 1
		.amdhsa_forward_progress 0
		.amdhsa_round_robin_scheduling 0
		.amdhsa_exception_fp_ieee_invalid_op 0
		.amdhsa_exception_fp_denorm_src 0
		.amdhsa_exception_fp_ieee_div_zero 0
		.amdhsa_exception_fp_ieee_overflow 0
		.amdhsa_exception_fp_ieee_underflow 0
		.amdhsa_exception_fp_ieee_inexact 0
		.amdhsa_exception_int_div_zero 0
	.end_amdhsa_kernel
	.text
.Lfunc_end0:
	.size	bluestein_single_back_len1836_dim1_dp_op_CI_CI, .Lfunc_end0-bluestein_single_back_len1836_dim1_dp_op_CI_CI
                                        ; -- End function
	.section	.AMDGPU.csdata,"",@progbits
; Kernel info:
; codeLenInByte = 24944
; NumSgprs: 60
; NumVgprs: 256
; ScratchSize: 332
; MemoryBound: 0
; FloatMode: 240
; IeeeMode: 1
; LDSByteSize: 29376 bytes/workgroup (compile time only)
; SGPRBlocks: 7
; VGPRBlocks: 31
; NumSGPRsForWavesPerEU: 60
; NumVGPRsForWavesPerEU: 256
; Occupancy: 5
; WaveLimiterHint : 1
; COMPUTE_PGM_RSRC2:SCRATCH_EN: 1
; COMPUTE_PGM_RSRC2:USER_SGPR: 2
; COMPUTE_PGM_RSRC2:TRAP_HANDLER: 0
; COMPUTE_PGM_RSRC2:TGID_X_EN: 1
; COMPUTE_PGM_RSRC2:TGID_Y_EN: 0
; COMPUTE_PGM_RSRC2:TGID_Z_EN: 0
; COMPUTE_PGM_RSRC2:TIDIG_COMP_CNT: 0
	.text
	.p2alignl 7, 3214868480
	.fill 96, 4, 3214868480
	.type	__hip_cuid_69c740d73c2e381c,@object ; @__hip_cuid_69c740d73c2e381c
	.section	.bss,"aw",@nobits
	.globl	__hip_cuid_69c740d73c2e381c
__hip_cuid_69c740d73c2e381c:
	.byte	0                               ; 0x0
	.size	__hip_cuid_69c740d73c2e381c, 1

	.ident	"AMD clang version 19.0.0git (https://github.com/RadeonOpenCompute/llvm-project roc-6.4.0 25133 c7fe45cf4b819c5991fe208aaa96edf142730f1d)"
	.section	".note.GNU-stack","",@progbits
	.addrsig
	.addrsig_sym __hip_cuid_69c740d73c2e381c
	.amdgpu_metadata
---
amdhsa.kernels:
  - .args:
      - .actual_access:  read_only
        .address_space:  global
        .offset:         0
        .size:           8
        .value_kind:     global_buffer
      - .actual_access:  read_only
        .address_space:  global
        .offset:         8
        .size:           8
        .value_kind:     global_buffer
      - .actual_access:  read_only
        .address_space:  global
        .offset:         16
        .size:           8
        .value_kind:     global_buffer
      - .actual_access:  read_only
        .address_space:  global
        .offset:         24
        .size:           8
        .value_kind:     global_buffer
      - .actual_access:  read_only
        .address_space:  global
        .offset:         32
        .size:           8
        .value_kind:     global_buffer
      - .offset:         40
        .size:           8
        .value_kind:     by_value
      - .address_space:  global
        .offset:         48
        .size:           8
        .value_kind:     global_buffer
      - .address_space:  global
        .offset:         56
        .size:           8
        .value_kind:     global_buffer
      - .address_space:  global
        .offset:         64
        .size:           8
        .value_kind:     global_buffer
      - .address_space:  global
        .offset:         72
        .size:           8
        .value_kind:     global_buffer
      - .offset:         80
        .size:           4
        .value_kind:     by_value
      - .address_space:  global
        .offset:         88
        .size:           8
        .value_kind:     global_buffer
      - .address_space:  global
        .offset:         96
        .size:           8
        .value_kind:     global_buffer
    .group_segment_fixed_size: 29376
    .kernarg_segment_align: 8
    .kernarg_segment_size: 104
    .language:       OpenCL C
    .language_version:
      - 2
      - 0
    .max_flat_workgroup_size: 153
    .name:           bluestein_single_back_len1836_dim1_dp_op_CI_CI
    .private_segment_fixed_size: 332
    .sgpr_count:     60
    .sgpr_spill_count: 0
    .symbol:         bluestein_single_back_len1836_dim1_dp_op_CI_CI.kd
    .uniform_work_group_size: 1
    .uses_dynamic_stack: false
    .vgpr_count:     256
    .vgpr_spill_count: 132
    .wavefront_size: 32
    .workgroup_processor_mode: 1
amdhsa.target:   amdgcn-amd-amdhsa--gfx1201
amdhsa.version:
  - 1
  - 2
...

	.end_amdgpu_metadata
